;; amdgpu-corpus repo=ROCm/rocFFT kind=compiled arch=gfx1030 opt=O3
	.text
	.amdgcn_target "amdgcn-amd-amdhsa--gfx1030"
	.amdhsa_code_object_version 6
	.protected	fft_rtc_fwd_len169_factors_13_13_wgs_156_tpt_13_sp_op_CI_CI_sbcc_twdbase8_3step ; -- Begin function fft_rtc_fwd_len169_factors_13_13_wgs_156_tpt_13_sp_op_CI_CI_sbcc_twdbase8_3step
	.globl	fft_rtc_fwd_len169_factors_13_13_wgs_156_tpt_13_sp_op_CI_CI_sbcc_twdbase8_3step
	.p2align	8
	.type	fft_rtc_fwd_len169_factors_13_13_wgs_156_tpt_13_sp_op_CI_CI_sbcc_twdbase8_3step,@function
fft_rtc_fwd_len169_factors_13_13_wgs_156_tpt_13_sp_op_CI_CI_sbcc_twdbase8_3step: ; @fft_rtc_fwd_len169_factors_13_13_wgs_156_tpt_13_sp_op_CI_CI_sbcc_twdbase8_3step
; %bb.0:
	s_clause 0x1
	s_load_dwordx4 s[20:23], s[4:5], 0x18
	s_load_dwordx2 s[30:31], s[4:5], 0x28
	s_mov_b64 s[24:25], 0
	s_waitcnt lgkmcnt(0)
	s_load_dwordx2 s[28:29], s[20:21], 0x8
	s_waitcnt lgkmcnt(0)
	s_add_u32 s0, s28, -1
	s_addc_u32 s1, s29, -1
	s_add_u32 s2, 0, 0x55540000
	s_addc_u32 s3, 0, 0x55
	s_mul_hi_u32 s8, s2, -12
	s_add_i32 s3, s3, 0x15555500
	s_sub_i32 s8, s8, s2
	s_mul_i32 s10, s3, -12
	s_mul_i32 s7, s2, -12
	s_add_i32 s8, s8, s10
	s_mul_hi_u32 s9, s2, s7
	s_mul_i32 s12, s2, s8
	s_mul_hi_u32 s10, s2, s8
	s_mul_hi_u32 s11, s3, s7
	s_mul_i32 s7, s3, s7
	s_add_u32 s9, s9, s12
	s_addc_u32 s10, 0, s10
	s_mul_hi_u32 s13, s3, s8
	s_add_u32 s7, s9, s7
	s_mul_i32 s8, s3, s8
	s_addc_u32 s7, s10, s11
	s_addc_u32 s9, s13, 0
	s_add_u32 s7, s7, s8
	v_add_co_u32 v1, s2, s2, s7
	s_addc_u32 s7, 0, s9
	s_cmp_lg_u32 s2, 0
	s_addc_u32 s2, s3, s7
	v_readfirstlane_b32 s3, v1
	s_mul_i32 s8, s0, s2
	s_mul_hi_u32 s7, s0, s2
	s_mul_hi_u32 s9, s1, s2
	s_mul_i32 s2, s1, s2
	s_mul_hi_u32 s10, s0, s3
	s_mul_hi_u32 s11, s1, s3
	s_mul_i32 s3, s1, s3
	s_add_u32 s8, s10, s8
	s_addc_u32 s7, 0, s7
	s_add_u32 s3, s8, s3
	s_addc_u32 s3, s7, s11
	s_addc_u32 s7, s9, 0
	s_add_u32 s2, s3, s2
	s_addc_u32 s3, 0, s7
	s_mul_i32 s8, s2, 12
	s_add_u32 s7, s2, 1
	v_sub_co_u32 v1, s0, s0, s8
	s_mul_hi_u32 s8, s2, 12
	s_addc_u32 s9, s3, 0
	s_mul_i32 s10, s3, 12
	v_sub_co_u32 v2, s11, v1, 12
	s_add_u32 s12, s2, 2
	s_addc_u32 s13, s3, 0
	s_add_i32 s8, s8, s10
	s_cmp_lg_u32 s0, 0
	v_readfirstlane_b32 s0, v2
	s_subb_u32 s1, s1, s8
	s_cmp_lg_u32 s11, 0
	s_subb_u32 s8, s1, 0
	s_cmp_gt_u32 s0, 11
	s_cselect_b32 s0, -1, 0
	s_cmp_eq_u32 s8, 0
	v_readfirstlane_b32 s8, v1
	s_cselect_b32 s0, s0, -1
	s_cmp_lg_u32 s0, 0
	s_cselect_b32 s0, s12, s7
	s_cselect_b32 s9, s13, s9
	s_cmp_gt_u32 s8, 11
	s_cselect_b32 s7, -1, 0
	s_cmp_eq_u32 s1, 0
	s_cselect_b32 s1, s7, -1
	s_mov_b32 s7, 0
	s_cmp_lg_u32 s1, 0
	s_cselect_b32 s0, s0, s2
	s_cselect_b32 s1, s9, s3
	s_add_u32 s36, s0, 1
	s_addc_u32 s37, s1, 0
	v_cmp_lt_u64_e64 s0, s[6:7], s[36:37]
	s_and_b32 vcc_lo, exec_lo, s0
	s_cbranch_vccnz .LBB0_2
; %bb.1:
	v_cvt_f32_u32_e32 v1, s36
	s_sub_i32 s1, 0, s36
	s_mov_b32 s25, s7
	v_rcp_iflag_f32_e32 v1, v1
	v_mul_f32_e32 v1, 0x4f7ffffe, v1
	v_cvt_u32_f32_e32 v1, v1
	v_readfirstlane_b32 s0, v1
	s_mul_i32 s1, s1, s0
	s_mul_hi_u32 s1, s0, s1
	s_add_i32 s0, s0, s1
	s_mul_hi_u32 s0, s6, s0
	s_mul_i32 s1, s0, s36
	s_add_i32 s2, s0, 1
	s_sub_i32 s1, s6, s1
	s_sub_i32 s3, s1, s36
	s_cmp_ge_u32 s1, s36
	s_cselect_b32 s0, s2, s0
	s_cselect_b32 s1, s3, s1
	s_add_i32 s2, s0, 1
	s_cmp_ge_u32 s1, s36
	s_cselect_b32 s24, s2, s0
.LBB0_2:
	s_load_dwordx4 s[16:19], s[22:23], 0x0
	s_load_dwordx4 s[0:3], s[30:31], 0x0
	s_clause 0x1
	s_load_dwordx4 s[12:15], s[4:5], 0x8
	s_load_dwordx2 s[26:27], s[4:5], 0x0
	s_mul_i32 s8, s24, s37
	s_mul_hi_u32 s9, s24, s36
	s_mul_i32 s10, s24, s36
	s_add_i32 s9, s9, s8
	s_sub_u32 s50, s6, s10
	s_subb_u32 s8, 0, s9
	s_mul_hi_u32 s33, s50, 12
	s_mul_i32 s34, s8, 12
	s_load_dwordx4 s[8:11], s[4:5], 0x60
	s_add_i32 s33, s33, s34
	s_mul_i32 s50, s50, 12
	s_waitcnt lgkmcnt(0)
	s_mul_i32 s4, s18, s33
	s_mul_hi_u32 s5, s18, s50
	v_cmp_lt_u64_e64 s40, s[14:15], 3
	s_mul_i32 s35, s2, s33
	s_mul_hi_u32 s38, s2, s50
	s_mul_i32 s34, s19, s50
	s_mul_i32 s39, s3, s50
	s_add_i32 s4, s5, s4
	s_add_i32 s5, s38, s35
	;; [unrolled: 1-line block ×3, first 2 shown]
	s_mul_i32 s34, s18, s50
	s_add_i32 s5, s5, s39
	s_and_b32 vcc_lo, exec_lo, s40
	s_mul_i32 s4, s2, s50
	s_cbranch_vccnz .LBB0_12
; %bb.3:
	s_add_u32 s38, s30, 16
	s_addc_u32 s39, s31, 0
	s_add_u32 s40, s22, 16
	s_addc_u32 s41, s23, 0
	;; [unrolled: 2-line block ×3, first 2 shown]
	s_mov_b64 s[42:43], 2
	s_mov_b32 s44, 0
.LBB0_4:                                ; =>This Inner Loop Header: Depth=1
	s_load_dwordx2 s[46:47], s[20:21], 0x0
	s_waitcnt lgkmcnt(0)
	s_or_b64 s[48:49], s[24:25], s[46:47]
	s_mov_b32 s45, s49
                                        ; implicit-def: $sgpr48_sgpr49
	s_cmp_lg_u64 s[44:45], 0
	s_mov_b32 s45, -1
	s_cbranch_scc0 .LBB0_6
; %bb.5:                                ;   in Loop: Header=BB0_4 Depth=1
	v_cvt_f32_u32_e32 v1, s46
	v_cvt_f32_u32_e32 v2, s47
	s_sub_u32 s49, 0, s46
	s_subb_u32 s51, 0, s47
	v_fmac_f32_e32 v1, 0x4f800000, v2
	v_rcp_f32_e32 v1, v1
	v_mul_f32_e32 v1, 0x5f7ffffc, v1
	v_mul_f32_e32 v2, 0x2f800000, v1
	v_trunc_f32_e32 v2, v2
	v_fmac_f32_e32 v1, 0xcf800000, v2
	v_cvt_u32_f32_e32 v2, v2
	v_cvt_u32_f32_e32 v1, v1
	v_readfirstlane_b32 s45, v2
	v_readfirstlane_b32 s48, v1
	s_mul_i32 s52, s49, s45
	s_mul_hi_u32 s54, s49, s48
	s_mul_i32 s53, s51, s48
	s_add_i32 s52, s54, s52
	s_mul_i32 s55, s49, s48
	s_add_i32 s52, s52, s53
	s_mul_hi_u32 s54, s48, s55
	s_mul_hi_u32 s56, s45, s55
	s_mul_i32 s53, s45, s55
	s_mul_hi_u32 s55, s48, s52
	s_mul_i32 s48, s48, s52
	s_mul_hi_u32 s57, s45, s52
	s_add_u32 s48, s54, s48
	s_addc_u32 s54, 0, s55
	s_add_u32 s48, s48, s53
	s_mul_i32 s52, s45, s52
	s_addc_u32 s48, s54, s56
	s_addc_u32 s53, s57, 0
	s_add_u32 s48, s48, s52
	s_addc_u32 s52, 0, s53
	v_add_co_u32 v1, s48, v1, s48
	s_cmp_lg_u32 s48, 0
	s_addc_u32 s45, s45, s52
	v_readfirstlane_b32 s48, v1
	s_mul_i32 s52, s49, s45
	s_mul_hi_u32 s53, s49, s48
	s_mul_i32 s51, s51, s48
	s_add_i32 s52, s53, s52
	s_mul_i32 s49, s49, s48
	s_add_i32 s52, s52, s51
	s_mul_hi_u32 s53, s45, s49
	s_mul_i32 s54, s45, s49
	s_mul_hi_u32 s49, s48, s49
	s_mul_hi_u32 s55, s48, s52
	s_mul_i32 s48, s48, s52
	s_mul_hi_u32 s51, s45, s52
	s_add_u32 s48, s49, s48
	s_addc_u32 s49, 0, s55
	s_add_u32 s48, s48, s54
	s_mul_i32 s52, s45, s52
	s_addc_u32 s48, s49, s53
	s_addc_u32 s49, s51, 0
	s_add_u32 s48, s48, s52
	s_addc_u32 s49, 0, s49
	v_add_co_u32 v1, s48, v1, s48
	s_cmp_lg_u32 s48, 0
	s_addc_u32 s45, s45, s49
	v_readfirstlane_b32 s48, v1
	s_mul_i32 s51, s24, s45
	s_mul_hi_u32 s49, s24, s45
	s_mul_hi_u32 s52, s25, s45
	s_mul_i32 s45, s25, s45
	s_mul_hi_u32 s53, s24, s48
	s_mul_hi_u32 s54, s25, s48
	s_mul_i32 s48, s25, s48
	s_add_u32 s51, s53, s51
	s_addc_u32 s49, 0, s49
	s_add_u32 s48, s51, s48
	s_addc_u32 s48, s49, s54
	s_addc_u32 s49, s52, 0
	s_add_u32 s48, s48, s45
	s_addc_u32 s49, 0, s49
	s_mul_hi_u32 s45, s46, s48
	s_mul_i32 s52, s46, s49
	s_mul_i32 s53, s46, s48
	s_add_i32 s45, s45, s52
	v_sub_co_u32 v1, s52, s24, s53
	s_mul_i32 s51, s47, s48
	s_add_i32 s45, s45, s51
	v_sub_co_u32 v2, s53, v1, s46
	s_sub_i32 s51, s25, s45
	s_cmp_lg_u32 s52, 0
	s_subb_u32 s51, s51, s47
	s_cmp_lg_u32 s53, 0
	v_readfirstlane_b32 s53, v2
	s_subb_u32 s51, s51, 0
	s_cmp_ge_u32 s51, s47
	s_cselect_b32 s54, -1, 0
	s_cmp_ge_u32 s53, s46
	s_cselect_b32 s53, -1, 0
	s_cmp_eq_u32 s51, s47
	s_cselect_b32 s51, s53, s54
	s_add_u32 s53, s48, 1
	s_addc_u32 s54, s49, 0
	s_add_u32 s55, s48, 2
	s_addc_u32 s56, s49, 0
	s_cmp_lg_u32 s51, 0
	s_cselect_b32 s51, s55, s53
	s_cselect_b32 s53, s56, s54
	s_cmp_lg_u32 s52, 0
	v_readfirstlane_b32 s52, v1
	s_subb_u32 s45, s25, s45
	s_cmp_ge_u32 s45, s47
	s_cselect_b32 s54, -1, 0
	s_cmp_ge_u32 s52, s46
	s_cselect_b32 s52, -1, 0
	s_cmp_eq_u32 s45, s47
	s_cselect_b32 s45, s52, s54
	s_cmp_lg_u32 s45, 0
	s_mov_b32 s45, 0
	s_cselect_b32 s49, s53, s49
	s_cselect_b32 s48, s51, s48
.LBB0_6:                                ;   in Loop: Header=BB0_4 Depth=1
	s_andn2_b32 vcc_lo, exec_lo, s45
	s_cbranch_vccnz .LBB0_8
; %bb.7:                                ;   in Loop: Header=BB0_4 Depth=1
	v_cvt_f32_u32_e32 v1, s46
	s_sub_i32 s48, 0, s46
	v_rcp_iflag_f32_e32 v1, v1
	v_mul_f32_e32 v1, 0x4f7ffffe, v1
	v_cvt_u32_f32_e32 v1, v1
	v_readfirstlane_b32 s45, v1
	s_mul_i32 s48, s48, s45
	s_mul_hi_u32 s48, s45, s48
	s_add_i32 s45, s45, s48
	s_mul_hi_u32 s45, s24, s45
	s_mul_i32 s48, s45, s46
	s_add_i32 s49, s45, 1
	s_sub_i32 s48, s24, s48
	s_sub_i32 s51, s48, s46
	s_cmp_ge_u32 s48, s46
	s_cselect_b32 s45, s49, s45
	s_cselect_b32 s48, s51, s48
	s_add_i32 s49, s45, 1
	s_cmp_ge_u32 s48, s46
	s_cselect_b32 s48, s49, s45
	s_mov_b32 s49, s44
.LBB0_8:                                ;   in Loop: Header=BB0_4 Depth=1
	s_load_dwordx2 s[52:53], s[40:41], 0x0
	s_load_dwordx2 s[54:55], s[38:39], 0x0
	s_mul_i32 s37, s46, s37
	s_mul_hi_u32 s45, s46, s36
	s_mul_i32 s51, s47, s36
	s_mul_i32 s47, s48, s47
	s_mul_hi_u32 s56, s48, s46
	s_mul_i32 s57, s49, s46
	s_add_i32 s37, s45, s37
	s_add_i32 s45, s56, s47
	s_mul_i32 s58, s48, s46
	s_add_i32 s37, s37, s51
	s_add_i32 s45, s45, s57
	s_sub_u32 s24, s24, s58
	s_subb_u32 s25, s25, s45
	s_mul_i32 s36, s46, s36
	s_waitcnt lgkmcnt(0)
	s_mul_i32 s45, s52, s25
	s_mul_hi_u32 s47, s52, s24
	s_mul_i32 s51, s53, s24
	s_add_i32 s45, s47, s45
	s_mul_i32 s52, s52, s24
	s_mul_i32 s25, s54, s25
	s_mul_hi_u32 s47, s54, s24
	s_add_i32 s45, s45, s51
	s_add_u32 s34, s52, s34
	s_addc_u32 s35, s45, s35
	s_add_i32 s25, s47, s25
	s_mul_i32 s45, s55, s24
	s_mul_i32 s24, s54, s24
	s_add_i32 s25, s25, s45
	s_add_u32 s4, s24, s4
	s_addc_u32 s5, s25, s5
	s_add_u32 s42, s42, 1
	s_addc_u32 s43, s43, 0
	s_add_u32 s38, s38, 8
	v_cmp_ge_u64_e64 s24, s[42:43], s[14:15]
	s_addc_u32 s39, s39, 0
	s_add_u32 s40, s40, 8
	s_addc_u32 s41, s41, 0
	s_add_u32 s20, s20, 8
	s_addc_u32 s21, s21, 0
	s_and_b32 vcc_lo, exec_lo, s24
	s_cbranch_vccnz .LBB0_10
; %bb.9:                                ;   in Loop: Header=BB0_4 Depth=1
	s_mov_b64 s[24:25], s[48:49]
	s_branch .LBB0_4
.LBB0_10:
	v_cmp_lt_u64_e64 s7, s[6:7], s[36:37]
	s_mov_b64 s[24:25], 0
	s_and_b32 vcc_lo, exec_lo, s7
	s_cbranch_vccnz .LBB0_12
; %bb.11:
	v_cvt_f32_u32_e32 v1, s36
	s_sub_i32 s20, 0, s36
	v_rcp_iflag_f32_e32 v1, v1
	v_mul_f32_e32 v1, 0x4f7ffffe, v1
	v_cvt_u32_f32_e32 v1, v1
	v_readfirstlane_b32 s7, v1
	s_mul_i32 s20, s20, s7
	s_mul_hi_u32 s20, s7, s20
	s_add_i32 s7, s7, s20
	s_mul_hi_u32 s7, s6, s7
	s_mul_i32 s20, s7, s36
	s_sub_i32 s6, s6, s20
	s_add_i32 s20, s7, 1
	s_sub_i32 s21, s6, s36
	s_cmp_ge_u32 s6, s36
	s_cselect_b32 s7, s20, s7
	s_cselect_b32 s6, s21, s6
	s_add_i32 s20, s7, 1
	s_cmp_ge_u32 s6, s36
	s_cselect_b32 s24, s20, s7
.LBB0_12:
	v_mul_u32_u24_e32 v1, 0x1556, v0
	s_lshl_b64 s[14:15], s[14:15], 3
	s_add_u32 s6, s30, s14
	s_addc_u32 s7, s31, s15
	v_lshrrev_b32_e32 v46, 16, v1
	s_add_u32 s20, s50, 12
	s_addc_u32 s21, s33, 0
	v_cmp_le_u64_e64 s20, s[20:21], s[28:29]
	v_mul_lo_u16 v1, v46, 12
	v_lshlrev_b32_e32 v47, 3, v46
	v_add_nc_u32_e32 v45, 13, v46
	v_add_nc_u32_e32 v44, 26, v46
	;; [unrolled: 1-line block ×3, first 2 shown]
	v_sub_nc_u16 v1, v0, v1
	v_add_nc_u32_e32 v42, 52, v46
	v_add_nc_u32_e32 v41, 0x41, v46
	v_add_nc_u32_e32 v40, 0x4e, v46
	v_add_nc_u32_e32 v39, 0x5b, v46
	v_and_b32_e32 v48, 0xffff, v1
	v_add_nc_u32_e32 v38, 0x68, v46
	v_add_nc_u32_e32 v37, 0x75, v46
	;; [unrolled: 1-line block ×4, first 2 shown]
	v_add_co_u32 v1, s21, s50, v48
	v_add_co_ci_u32_e64 v2, null, s33, 0, s21
	v_mul_u32_u24_e32 v49, 0x548, v48
	v_add_nc_u32_e32 v34, 0x9c, v46
	v_cmp_gt_u64_e32 vcc_lo, s[28:29], v[1:2]
	s_or_b32 s20, s20, vcc_lo
	s_and_saveexec_b32 s21, s20
	s_cbranch_execz .LBB0_14
; %bb.13:
	s_add_u32 s14, s22, s14
	s_addc_u32 s15, s23, s15
	v_mad_u64_u32 v[1:2], null, s18, v48, 0
	s_load_dwordx2 s[14:15], s[14:15], 0x0
	v_mad_u64_u32 v[3:4], null, s16, v46, 0
	v_mad_u64_u32 v[5:6], null, s16, v45, 0
	v_mad_u64_u32 v[7:8], null, s16, v44, 0
	v_mad_u64_u32 v[9:10], null, s16, v43, 0
	v_mad_u64_u32 v[11:12], null, s19, v48, v[2:3]
	v_mad_u64_u32 v[12:13], null, s17, v46, v[4:5]
	v_mad_u64_u32 v[14:15], null, s16, v41, 0
	v_mad_u64_u32 v[16:17], null, s16, v39, 0
	v_mov_b32_e32 v2, v11
	v_mov_b32_e32 v4, v12
	s_waitcnt lgkmcnt(0)
	s_mul_i32 s15, s15, s24
	s_mul_hi_u32 s18, s14, s24
	s_mul_i32 s14, s14, s24
	s_add_i32 s15, s18, s15
	v_lshlrev_b64 v[1:2], 3, v[1:2]
	s_lshl_b64 s[14:15], s[14:15], 3
	v_mad_u64_u32 v[11:12], null, s17, v45, v[6:7]
	s_add_u32 s14, s8, s14
	s_addc_u32 s15, s9, s15
	s_lshl_b64 s[8:9], s[34:35], 3
	s_add_u32 s8, s14, s8
	s_addc_u32 s9, s15, s9
	v_add_co_u32 v33, vcc_lo, s8, v1
	v_add_co_ci_u32_e32 v50, vcc_lo, s9, v2, vcc_lo
	v_lshlrev_b64 v[2:3], 3, v[3:4]
	v_mov_b32_e32 v1, v8
	v_mov_b32_e32 v4, v10
	;; [unrolled: 1-line block ×3, first 2 shown]
	v_mad_u64_u32 v[10:11], null, s17, v44, v[1:2]
	v_mad_u64_u32 v[11:12], null, s17, v43, v[4:5]
	;; [unrolled: 1-line block ×3, first 2 shown]
	v_lshlrev_b64 v[4:5], 3, v[5:6]
	v_add_co_u32 v1, vcc_lo, v33, v2
	v_add_co_ci_u32_e32 v2, vcc_lo, v50, v3, vcc_lo
	v_mov_b32_e32 v8, v10
	v_mov_b32_e32 v10, v11
	;; [unrolled: 1-line block ×3, first 2 shown]
	v_add_co_u32 v4, vcc_lo, v33, v4
	v_lshlrev_b64 v[6:7], 3, v[7:8]
	v_lshlrev_b64 v[8:9], 3, v[9:10]
	v_add_co_ci_u32_e32 v5, vcc_lo, v50, v5, vcc_lo
	v_mad_u64_u32 v[10:11], null, s17, v42, v[3:4]
	v_mov_b32_e32 v3, v15
	v_add_co_u32 v6, vcc_lo, v33, v6
	v_add_co_ci_u32_e32 v7, vcc_lo, v50, v7, vcc_lo
	v_add_co_u32 v8, vcc_lo, v33, v8
	v_mov_b32_e32 v13, v10
	v_mad_u64_u32 v[10:11], null, s16, v40, 0
	v_mad_u64_u32 v[18:19], null, s17, v41, v[3:4]
	v_add_co_ci_u32_e32 v9, vcc_lo, v50, v9, vcc_lo
	s_clause 0x3
	global_load_dwordx2 v[1:2], v[1:2], off
	global_load_dwordx2 v[3:4], v[4:5], off
	;; [unrolled: 1-line block ×4, first 2 shown]
	v_mov_b32_e32 v9, v11
	v_lshlrev_b64 v[11:12], 3, v[12:13]
	v_mov_b32_e32 v13, v17
	v_mov_b32_e32 v15, v18
	v_mad_u64_u32 v[17:18], null, s17, v40, v[9:10]
	v_mad_u64_u32 v[18:19], null, s17, v39, v[13:14]
	v_add_co_u32 v19, vcc_lo, v33, v11
	v_add_co_ci_u32_e32 v20, vcc_lo, v50, v12, vcc_lo
	v_lshlrev_b64 v[12:13], 3, v[14:15]
	v_mad_u64_u32 v[14:15], null, s16, v38, 0
	v_mov_b32_e32 v11, v17
	v_mov_b32_e32 v17, v18
	v_add_co_u32 v12, vcc_lo, v33, v12
	v_lshlrev_b64 v[9:10], 3, v[10:11]
	v_mov_b32_e32 v11, v15
	v_lshlrev_b64 v[15:16], 3, v[16:17]
	v_mad_u64_u32 v[17:18], null, s16, v37, 0
	v_add_co_ci_u32_e32 v13, vcc_lo, v50, v13, vcc_lo
	v_mad_u64_u32 v[21:22], null, s17, v38, v[11:12]
	v_mad_u64_u32 v[22:23], null, s16, v35, 0
	v_add_co_u32 v9, vcc_lo, v33, v9
	v_mov_b32_e32 v11, v18
	v_add_co_ci_u32_e32 v10, vcc_lo, v50, v10, vcc_lo
	v_add_co_u32 v24, vcc_lo, v33, v15
	v_add_co_ci_u32_e32 v25, vcc_lo, v50, v16, vcc_lo
	v_mov_b32_e32 v16, v23
	v_mad_u64_u32 v[26:27], null, s17, v37, v[11:12]
	v_mad_u64_u32 v[27:28], null, s16, v36, 0
	v_mov_b32_e32 v15, v21
	v_mad_u64_u32 v[29:30], null, s17, v35, v[16:17]
	v_mad_u64_u32 v[30:31], null, s16, v34, 0
	v_lshlrev_b64 v[14:15], 3, v[14:15]
	s_clause 0x3
	global_load_dwordx2 v[19:20], v[19:20], off
	global_load_dwordx2 v[11:12], v[12:13], off
	;; [unrolled: 1-line block ×4, first 2 shown]
	v_mov_b32_e32 v13, v28
	v_mov_b32_e32 v18, v26
	;; [unrolled: 1-line block ×3, first 2 shown]
	v_mad_u64_u32 v[28:29], null, s17, v36, v[13:14]
	v_mov_b32_e32 v13, v31
	v_add_co_u32 v14, vcc_lo, v33, v14
	v_lshlrev_b64 v[16:17], 3, v[17:18]
	v_lshlrev_b64 v[21:22], 3, v[22:23]
	v_add_co_ci_u32_e32 v15, vcc_lo, v50, v15, vcc_lo
	v_mad_u64_u32 v[31:32], null, s17, v34, v[13:14]
	v_add_co_u32 v16, vcc_lo, v33, v16
	v_lshlrev_b64 v[26:27], 3, v[27:28]
	v_add_co_ci_u32_e32 v17, vcc_lo, v50, v17, vcc_lo
	v_add_co_u32 v21, vcc_lo, v33, v21
	v_lshlrev_b64 v[28:29], 3, v[30:31]
	v_add_co_ci_u32_e32 v22, vcc_lo, v50, v22, vcc_lo
	v_add_co_u32 v26, vcc_lo, v33, v26
	v_add_co_ci_u32_e32 v27, vcc_lo, v50, v27, vcc_lo
	v_add_co_u32 v28, vcc_lo, v33, v28
	v_add_co_ci_u32_e32 v29, vcc_lo, v50, v29, vcc_lo
	s_clause 0x4
	global_load_dwordx2 v[13:14], v[14:15], off
	global_load_dwordx2 v[15:16], v[16:17], off
	;; [unrolled: 1-line block ×5, first 2 shown]
	v_add3_u32 v23, 0, v49, v47
	s_waitcnt vmcnt(11)
	ds_write2_b64 v23, v[1:2], v[3:4] offset1:13
	s_waitcnt vmcnt(9)
	ds_write2_b64 v23, v[5:6], v[7:8] offset0:26 offset1:39
	s_waitcnt vmcnt(7)
	ds_write2_b64 v23, v[19:20], v[11:12] offset0:52 offset1:65
	s_waitcnt vmcnt(5)
	ds_write2_b64 v23, v[9:10], v[24:25] offset0:78 offset1:91
	s_waitcnt vmcnt(3)
	ds_write2_b64 v23, v[13:14], v[15:16] offset0:104 offset1:117
	s_waitcnt vmcnt(1)
	ds_write2_b64 v23, v[17:18], v[21:22] offset0:130 offset1:143
	s_waitcnt vmcnt(0)
	ds_write_b64 v23, v[26:27] offset:1248
.LBB0_14:
	s_or_b32 exec_lo, exec_lo, s21
	s_add_u32 s8, 0, 0x55540000
	s_addc_u32 s9, 0, 0x55
	s_mul_hi_u32 s15, s8, -12
	s_add_i32 s9, s9, 0x15555500
	v_mov_b32_e32 v1, 0x13b2
	s_sub_i32 s15, s15, s8
	s_mul_i32 s17, s9, -12
	s_mul_i32 s14, s8, -12
	s_add_i32 s15, s15, s17
	s_mul_hi_u32 s16, s9, s14
	s_mul_i32 s17, s9, s14
	s_mul_i32 s18, s8, s15
	s_mul_hi_u32 s14, s8, s14
	v_mul_u32_u24_sdwa v1, v0, v1 dst_sel:DWORD dst_unused:UNUSED_PAD src0_sel:WORD_0 src1_sel:DWORD
	s_mul_hi_u32 s19, s8, s15
	s_add_u32 s14, s14, s18
	s_addc_u32 s18, 0, s19
	s_mul_hi_u32 s19, s9, s15
	s_add_u32 s14, s14, s17
	s_addc_u32 s14, s18, s16
	s_mul_i32 s15, s9, s15
	v_lshrrev_b32_e32 v5, 16, v1
	s_addc_u32 s16, s19, 0
	s_add_u32 s14, s14, s15
	s_load_dwordx2 s[6:7], s[6:7], 0x0
	v_add_co_u32 v3, s8, s8, s14
	s_addc_u32 s14, 0, s16
	s_cmp_lg_u32 s8, 0
	v_add_co_u32 v51, s8, s50, v5
	s_addc_u32 s9, s9, s14
	v_add_co_ci_u32_e64 v6, null, s33, 0, s8
	v_mad_u64_u32 v[1:2], null, v51, s9, 0
	v_mul_hi_u32 v7, v51, v3
	v_mad_u64_u32 v[3:4], null, v6, v3, 0
	v_mul_lo_u16 v5, v5, 13
	s_waitcnt lgkmcnt(0)
	s_barrier
	buffer_gl0_inv
	v_add_co_u32 v7, vcc_lo, v7, v1
	v_add_co_ci_u32_e32 v8, vcc_lo, 0, v2, vcc_lo
	v_mad_u64_u32 v[1:2], null, v6, s9, 0
	v_add_co_u32 v3, vcc_lo, v7, v3
	v_add_co_ci_u32_e32 v3, vcc_lo, v8, v4, vcc_lo
	v_sub_nc_u16 v0, v0, v5
	v_add_co_ci_u32_e32 v2, vcc_lo, 0, v2, vcc_lo
	v_add_co_u32 v1, vcc_lo, v3, v1
	v_and_b32_e32 v52, 0xffff, v0
	v_add_co_ci_u32_e32 v3, vcc_lo, 0, v2, vcc_lo
	v_mad_u64_u32 v[1:2], null, v1, 12, 0
	v_mad_u64_u32 v[2:3], null, v3, 12, v[2:3]
	v_sub_co_u32 v1, vcc_lo, v51, v1
	v_sub_co_ci_u32_e32 v2, vcc_lo, v6, v2, vcc_lo
	v_sub_co_u32 v3, vcc_lo, v1, 12
	v_subrev_co_ci_u32_e32 v4, vcc_lo, 0, v2, vcc_lo
	v_cmp_lt_u32_e32 vcc_lo, 11, v3
	v_cndmask_b32_e64 v6, 0, -1, vcc_lo
	v_cmp_lt_u32_e32 vcc_lo, 11, v1
	v_cndmask_b32_e64 v7, 0, -1, vcc_lo
	v_cmp_eq_u32_e32 vcc_lo, 0, v4
	v_cndmask_b32_e32 v4, -1, v6, vcc_lo
	v_cmp_eq_u32_e32 vcc_lo, 0, v2
	v_add_nc_u32_e32 v6, -12, v3
	v_cndmask_b32_e32 v2, -1, v7, vcc_lo
	v_cmp_ne_u32_e32 vcc_lo, 0, v4
	v_cndmask_b32_e32 v3, v3, v6, vcc_lo
	v_cmp_ne_u32_e32 vcc_lo, 0, v2
	v_cndmask_b32_e32 v1, v1, v3, vcc_lo
	v_mul_u32_u24_e32 v0, 0xa9, v1
	v_lshlrev_b32_e32 v1, 3, v52
	v_lshlrev_b32_e32 v0, 3, v0
	v_add_nc_u32_e32 v10, 0, v0
	v_add3_u32 v50, 0, v1, v0
	ds_read2_b64 v[11:14], v50 offset0:13 offset1:26
	ds_read2_b64 v[15:18], v50 offset0:143 offset1:156
	v_add_nc_u32_e32 v53, v10, v1
	ds_read_b64 v[8:9], v53
	ds_read2_b64 v[19:22], v50 offset0:39 offset1:52
	ds_read2_b64 v[0:3], v50 offset0:65 offset1:78
	;; [unrolled: 1-line block ×4, first 2 shown]
	v_mad_u32_u24 v10, 0x68, v52, v10
	s_waitcnt lgkmcnt(0)
	s_barrier
	buffer_gl0_inv
	v_add_f32_e32 v27, v17, v11
	v_add_f32_e32 v28, v18, v12
	v_sub_f32_e32 v29, v11, v17
	v_sub_f32_e32 v30, v12, v18
	v_add_f32_e32 v11, v8, v11
	v_add_f32_e32 v12, v9, v12
	v_sub_f32_e32 v33, v13, v15
	v_mul_f32_e32 v56, 0xbeedf032, v29
	v_mul_f32_e32 v55, 0xbeedf032, v30
	v_add_f32_e32 v11, v11, v13
	v_add_f32_e32 v12, v12, v14
	v_mul_f32_e32 v57, 0xbf52af12, v30
	v_mul_f32_e32 v58, 0xbf52af12, v29
	v_mul_f32_e32 v59, 0xbf7e222b, v30
	v_add_f32_e32 v11, v11, v19
	v_add_f32_e32 v12, v12, v20
	v_mul_f32_e32 v60, 0xbf7e222b, v29
	;; [unrolled: 5-line block ×4, first 2 shown]
	v_add_f32_e32 v31, v15, v13
	v_add_f32_e32 v32, v16, v14
	;; [unrolled: 1-line block ×4, first 2 shown]
	v_sub_f32_e32 v54, v14, v16
	v_mul_f32_e32 v66, 0xbf52af12, v33
	v_fma_f32 v13, 0x3f62ad3f, v27, -v55
	v_add_f32_e32 v11, v11, v4
	v_add_f32_e32 v12, v12, v5
	v_fmamk_f32 v14, v28, 0x3f62ad3f, v56
	v_fmac_f32_e32 v55, 0x3f62ad3f, v27
	v_fma_f32 v69, 0x3f116cb1, v27, -v57
	v_add_f32_e32 v11, v11, v6
	v_add_f32_e32 v12, v12, v7
	v_fmac_f32_e32 v57, 0x3f116cb1, v27
	v_fma_f32 v71, 0x3df6dbef, v27, -v59
	v_fmac_f32_e32 v59, 0x3df6dbef, v27
	v_add_f32_e32 v11, v11, v23
	v_add_f32_e32 v12, v12, v24
	v_fma_f32 v73, 0xbeb58ec6, v27, -v61
	v_fmac_f32_e32 v61, 0xbeb58ec6, v27
	v_fma_f32 v75, 0xbf3f9e67, v27, -v63
	v_fmac_f32_e32 v63, 0xbf3f9e67, v27
	;; [unrolled: 2-line block ×3, first 2 shown]
	v_fma_f32 v27, 0xbf788fa5, v28, -v29
	v_add_f32_e32 v11, v11, v25
	v_add_f32_e32 v12, v12, v26
	v_mul_f32_e32 v65, 0xbf52af12, v54
	v_mul_f32_e32 v67, 0xbf6f5d39, v54
	v_fma_f32 v56, 0x3f62ad3f, v28, -v56
	v_fmamk_f32 v70, v28, 0x3f116cb1, v58
	v_fma_f32 v58, 0x3f116cb1, v28, -v58
	v_fmamk_f32 v72, v28, 0x3df6dbef, v60
	;; [unrolled: 2-line block ×5, first 2 shown]
	v_fmamk_f32 v29, v32, 0x3f116cb1, v66
	v_add_f32_e32 v14, v9, v14
	v_add_f32_e32 v11, v11, v15
	;; [unrolled: 1-line block ×4, first 2 shown]
	v_mul_f32_e32 v27, 0xbe750f2a, v54
	v_mul_f32_e32 v68, 0xbf6f5d39, v33
	v_fma_f32 v28, 0x3f116cb1, v31, -v65
	v_fmac_f32_e32 v65, 0x3f116cb1, v31
	v_fma_f32 v66, 0x3f116cb1, v32, -v66
	v_add_f32_e32 v13, v8, v13
	v_add_f32_e32 v55, v8, v55
	;; [unrolled: 1-line block ×24, first 2 shown]
	v_fma_f32 v11, 0xbeb58ec6, v31, -v67
	v_add_f32_e32 v12, v29, v14
	v_fmac_f32_e32 v67, 0xbeb58ec6, v31
	v_mul_f32_e32 v29, 0xbe750f2a, v33
	v_fma_f32 v30, 0xbf788fa5, v31, -v27
	v_fmac_f32_e32 v27, 0xbf788fa5, v31
	v_add_f32_e32 v13, v28, v13
	v_add_f32_e32 v14, v65, v55
	;; [unrolled: 1-line block ×3, first 2 shown]
	v_fma_f32 v28, 0xbeb58ec6, v32, -v68
	v_add_f32_e32 v55, v67, v57
	v_mul_f32_e32 v56, 0x3f29c268, v54
	v_fmamk_f32 v57, v32, 0xbf788fa5, v29
	v_fma_f32 v29, 0xbf788fa5, v32, -v29
	v_mul_f32_e32 v65, 0x3f29c268, v33
	v_add_f32_e32 v27, v27, v59
	v_mul_f32_e32 v59, 0x3f7e222b, v54
	v_add_f32_e32 v28, v28, v58
	v_fma_f32 v58, 0xbf3f9e67, v31, -v56
	v_add_f32_e32 v29, v29, v60
	v_fmamk_f32 v60, v32, 0xbf3f9e67, v65
	v_fmac_f32_e32 v56, 0xbf3f9e67, v31
	v_mul_f32_e32 v66, 0x3f7e222b, v33
	v_fma_f32 v65, 0xbf3f9e67, v32, -v65
	v_fma_f32 v67, 0x3df6dbef, v31, -v59
	v_mul_f32_e32 v54, 0x3eedf032, v54
	v_fmac_f32_e32 v59, 0x3df6dbef, v31
	v_add_f32_e32 v56, v56, v61
	v_fmamk_f32 v61, v32, 0x3df6dbef, v66
	v_add_f32_e32 v62, v65, v62
	v_add_f32_e32 v65, v67, v75
	v_fma_f32 v66, 0x3df6dbef, v32, -v66
	v_fma_f32 v67, 0x3f62ad3f, v31, -v54
	v_add_f32_e32 v59, v59, v63
	v_sub_f32_e32 v63, v20, v26
	v_add_f32_e32 v11, v11, v69
	v_mul_f32_e32 v33, 0x3eedf032, v33
	v_add_f32_e32 v64, v66, v64
	v_add_f32_e32 v66, v67, v77
	;; [unrolled: 1-line block ×3, first 2 shown]
	v_mul_f32_e32 v69, 0xbf7e222b, v63
	v_sub_f32_e32 v19, v19, v25
	v_fmac_f32_e32 v54, 0x3f62ad3f, v31
	v_fma_f32 v25, 0x3f62ad3f, v32, -v33
	v_add_f32_e32 v20, v26, v20
	v_fma_f32 v31, 0x3df6dbef, v67, -v69
	v_mul_f32_e32 v26, 0xbf7e222b, v19
	v_fmamk_f32 v18, v32, 0xbeb58ec6, v68
	v_fmamk_f32 v68, v32, 0x3f62ad3f, v33
	v_add_f32_e32 v16, v25, v16
	v_add_f32_e32 v13, v31, v13
	v_mul_f32_e32 v25, 0xbe750f2a, v63
	v_fmamk_f32 v31, v20, 0x3df6dbef, v26
	v_fma_f32 v26, 0x3df6dbef, v20, -v26
	v_mul_f32_e32 v32, 0xbe750f2a, v19
	v_add_f32_e32 v18, v18, v70
	v_fma_f32 v33, 0xbf788fa5, v67, -v25
	v_add_f32_e32 v12, v31, v12
	v_add_f32_e32 v17, v26, v17
	v_fmamk_f32 v26, v20, 0xbf788fa5, v32
	v_mul_f32_e32 v31, 0x3f6f5d39, v63
	v_fma_f32 v32, 0xbf788fa5, v20, -v32
	v_add_f32_e32 v30, v30, v71
	v_add_f32_e32 v11, v33, v11
	;; [unrolled: 1-line block ×3, first 2 shown]
	v_mul_f32_e32 v26, 0x3f6f5d39, v19
	v_fma_f32 v33, 0xbeb58ec6, v67, -v31
	v_add_f32_e32 v28, v32, v28
	v_mul_f32_e32 v32, 0x3eedf032, v63
	v_fmac_f32_e32 v31, 0xbeb58ec6, v67
	v_add_f32_e32 v57, v57, v72
	v_add_f32_e32 v58, v58, v73
	;; [unrolled: 1-line block ×3, first 2 shown]
	v_fmac_f32_e32 v25, 0xbf788fa5, v67
	v_fmamk_f32 v54, v20, 0xbeb58ec6, v26
	v_add_f32_e32 v30, v33, v30
	v_fma_f32 v26, 0xbeb58ec6, v20, -v26
	v_fma_f32 v33, 0x3f62ad3f, v67, -v32
	v_add_f32_e32 v27, v31, v27
	v_mul_f32_e32 v31, 0xbf52af12, v63
	v_add_f32_e32 v25, v25, v55
	v_add_f32_e32 v54, v54, v57
	v_mul_f32_e32 v55, 0x3eedf032, v19
	v_add_f32_e32 v26, v26, v29
	v_add_f32_e32 v29, v33, v58
	v_fmac_f32_e32 v32, 0x3f62ad3f, v67
	v_mul_f32_e32 v57, 0xbf52af12, v19
	v_fma_f32 v58, 0x3f116cb1, v67, -v31
	v_fmac_f32_e32 v31, 0x3f116cb1, v67
	v_add_f32_e32 v60, v60, v74
	v_fmamk_f32 v33, v20, 0x3f62ad3f, v55
	v_add_f32_e32 v32, v32, v56
	v_fmamk_f32 v56, v20, 0x3f116cb1, v57
	v_fma_f32 v57, 0x3f116cb1, v20, -v57
	v_add_f32_e32 v31, v31, v59
	v_sub_f32_e32 v59, v22, v24
	v_fma_f32 v55, 0x3f62ad3f, v20, -v55
	v_add_f32_e32 v33, v33, v60
	v_mul_f32_e32 v60, 0xbf29c268, v63
	v_mul_f32_e32 v19, 0xbf29c268, v19
	v_add_f32_e32 v57, v57, v64
	v_add_f32_e32 v63, v23, v21
	v_mul_f32_e32 v64, 0xbf6f5d39, v59
	v_sub_f32_e32 v21, v21, v23
	v_add_f32_e32 v55, v55, v62
	v_fmamk_f32 v62, v20, 0xbf3f9e67, v19
	v_fma_f32 v19, 0xbf3f9e67, v20, -v19
	v_fma_f32 v20, 0xbeb58ec6, v63, -v64
	v_add_f32_e32 v22, v24, v22
	v_mul_f32_e32 v23, 0xbf6f5d39, v21
	v_add_f32_e32 v61, v61, v76
	v_mul_f32_e32 v24, 0x3f29c268, v21
	v_add_f32_e32 v13, v20, v13
	v_add_f32_e32 v16, v19, v16
	v_fmamk_f32 v20, v22, 0xbeb58ec6, v23
	v_add_f32_e32 v56, v56, v61
	v_fma_f32 v61, 0xbf3f9e67, v67, -v60
	v_fmac_f32_e32 v60, 0xbf3f9e67, v67
	v_mul_f32_e32 v19, 0x3f29c268, v59
	v_fma_f32 v23, 0xbeb58ec6, v22, -v23
	v_add_f32_e32 v12, v20, v12
	v_fmamk_f32 v20, v22, 0xbf3f9e67, v24
	v_add_f32_e32 v15, v60, v15
	v_fma_f32 v60, 0xbf3f9e67, v63, -v19
	v_add_f32_e32 v17, v23, v17
	v_mul_f32_e32 v23, 0x3eedf032, v59
	v_fmac_f32_e32 v19, 0xbf3f9e67, v63
	v_fma_f32 v24, 0xbf3f9e67, v22, -v24
	v_add_f32_e32 v18, v20, v18
	v_mul_f32_e32 v20, 0x3eedf032, v21
	v_add_f32_e32 v11, v60, v11
	v_fma_f32 v60, 0x3f62ad3f, v63, -v23
	v_add_f32_e32 v19, v19, v25
	v_add_f32_e32 v24, v24, v28
	v_mul_f32_e32 v25, 0xbf7e222b, v59
	v_fmamk_f32 v28, v22, 0x3f62ad3f, v20
	v_fmac_f32_e32 v69, 0x3df6dbef, v67
	v_add_f32_e32 v30, v60, v30
	v_fmac_f32_e32 v23, 0x3f62ad3f, v63
	v_fma_f32 v20, 0x3f62ad3f, v22, -v20
	v_fma_f32 v60, 0x3df6dbef, v63, -v25
	v_add_f32_e32 v28, v28, v54
	v_mul_f32_e32 v54, 0xbf7e222b, v21
	v_add_f32_e32 v14, v69, v14
	v_fmac_f32_e32 v64, 0xbeb58ec6, v63
	v_add_f32_e32 v23, v23, v27
	v_add_f32_e32 v20, v20, v26
	v_add_f32_e32 v26, v60, v29
	v_mul_f32_e32 v27, 0x3e750f2a, v59
	v_fmamk_f32 v29, v22, 0x3df6dbef, v54
	v_fmac_f32_e32 v25, 0x3df6dbef, v63
	v_mul_f32_e32 v60, 0x3e750f2a, v21
	v_fma_f32 v54, 0x3df6dbef, v22, -v54
	v_add_f32_e32 v58, v58, v65
	v_add_f32_e32 v14, v64, v14
	v_fma_f32 v64, 0xbf788fa5, v63, -v27
	v_add_f32_e32 v29, v29, v33
	v_add_f32_e32 v25, v25, v32
	v_fmamk_f32 v32, v22, 0xbf788fa5, v60
	v_add_f32_e32 v33, v54, v55
	v_mul_f32_e32 v55, 0x3f52af12, v59
	v_fmac_f32_e32 v27, 0xbf788fa5, v63
	v_add_f32_e32 v61, v61, v66
	v_add_f32_e32 v54, v64, v58
	;; [unrolled: 1-line block ×3, first 2 shown]
	v_fma_f32 v56, 0xbf788fa5, v22, -v60
	v_fma_f32 v58, 0x3f116cb1, v63, -v55
	v_add_f32_e32 v27, v27, v31
	v_sub_f32_e32 v31, v1, v7
	v_mul_f32_e32 v21, 0x3f52af12, v21
	v_add_f32_e32 v56, v56, v57
	v_add_f32_e32 v57, v58, v61
	;; [unrolled: 1-line block ×3, first 2 shown]
	v_mul_f32_e32 v60, 0xbf29c268, v31
	v_sub_f32_e32 v0, v0, v6
	v_fmamk_f32 v59, v22, 0x3f116cb1, v21
	v_fma_f32 v6, 0x3f116cb1, v22, -v21
	v_add_f32_e32 v1, v7, v1
	v_fma_f32 v21, 0xbf3f9e67, v58, -v60
	v_mul_f32_e32 v7, 0xbf29c268, v0
	v_mul_f32_e32 v22, 0x3f7e222b, v0
	v_fmac_f32_e32 v55, 0x3f116cb1, v63
	v_add_f32_e32 v6, v6, v16
	v_add_f32_e32 v13, v21, v13
	v_fmamk_f32 v21, v1, 0xbf3f9e67, v7
	v_fma_f32 v7, 0xbf3f9e67, v1, -v7
	v_mul_f32_e32 v16, 0x3f7e222b, v31
	v_add_f32_e32 v15, v55, v15
	v_fmac_f32_e32 v60, 0xbf3f9e67, v58
	v_add_f32_e32 v12, v21, v12
	v_add_f32_e32 v7, v7, v17
	v_fmamk_f32 v17, v1, 0x3df6dbef, v22
	v_fma_f32 v55, 0x3df6dbef, v58, -v16
	v_mul_f32_e32 v21, 0xbf52af12, v31
	v_fmac_f32_e32 v16, 0x3df6dbef, v58
	v_fma_f32 v22, 0x3df6dbef, v1, -v22
	v_add_f32_e32 v17, v17, v18
	v_mul_f32_e32 v18, 0xbf52af12, v0
	v_add_f32_e32 v11, v55, v11
	v_fma_f32 v55, 0x3f116cb1, v58, -v21
	v_add_f32_e32 v16, v16, v19
	v_add_f32_e32 v19, v22, v24
	v_mul_f32_e32 v22, 0x3e750f2a, v31
	v_fmamk_f32 v24, v1, 0x3f116cb1, v18
	v_add_f32_e32 v30, v55, v30
	v_fmac_f32_e32 v21, 0x3f116cb1, v58
	v_fma_f32 v18, 0x3f116cb1, v1, -v18
	v_fma_f32 v55, 0xbf788fa5, v58, -v22
	v_add_f32_e32 v24, v24, v28
	v_mul_f32_e32 v28, 0x3e750f2a, v0
	v_add_f32_e32 v21, v21, v23
	v_add_f32_e32 v18, v18, v20
	;; [unrolled: 1-line block ×3, first 2 shown]
	v_mul_f32_e32 v23, 0x3eedf032, v31
	v_fmamk_f32 v26, v1, 0xbf788fa5, v28
	v_fmac_f32_e32 v22, 0xbf788fa5, v58
	v_mul_f32_e32 v55, 0x3eedf032, v0
	v_fma_f32 v28, 0xbf788fa5, v1, -v28
	v_mul_f32_e32 v31, 0xbf6f5d39, v31
	v_add_f32_e32 v68, v68, v78
	v_add_f32_e32 v14, v60, v14
	v_fma_f32 v60, 0x3f62ad3f, v58, -v23
	v_add_f32_e32 v22, v22, v25
	v_fmamk_f32 v25, v1, 0x3f62ad3f, v55
	v_add_f32_e32 v28, v28, v33
	v_fmac_f32_e32 v23, 0x3f62ad3f, v58
	v_fma_f32 v33, 0xbeb58ec6, v58, -v31
	v_add_f32_e32 v62, v62, v68
	v_add_f32_e32 v25, v25, v32
	v_mul_f32_e32 v0, 0xbf6f5d39, v0
	v_fma_f32 v32, 0x3f62ad3f, v1, -v55
	v_add_f32_e32 v23, v23, v27
	v_sub_f32_e32 v27, v3, v5
	v_add_f32_e32 v33, v33, v57
	v_sub_f32_e32 v57, v2, v4
	v_add_f32_e32 v59, v59, v62
	v_add_f32_e32 v26, v26, v29
	;; [unrolled: 1-line block ×3, first 2 shown]
	v_fmamk_f32 v54, v1, 0xbeb58ec6, v0
	v_add_f32_e32 v32, v32, v56
	v_add_f32_e32 v55, v4, v2
	v_mul_f32_e32 v56, 0xbe750f2a, v27
	v_fmac_f32_e32 v31, 0xbeb58ec6, v58
	v_fma_f32 v0, 0xbeb58ec6, v1, -v0
	v_add_f32_e32 v58, v5, v3
	v_mul_f32_e32 v2, 0xbe750f2a, v57
	v_add_f32_e32 v54, v54, v59
	v_fma_f32 v1, 0xbf788fa5, v55, -v56
	v_add_f32_e32 v59, v0, v6
	v_mul_f32_e32 v6, 0x3eedf032, v27
	v_fma_f32 v3, 0xbf788fa5, v58, -v2
	v_mul_f32_e32 v5, 0x3eedf032, v57
	v_add_f32_e32 v0, v1, v13
	v_fmamk_f32 v1, v58, 0xbf788fa5, v2
	v_fma_f32 v4, 0x3f62ad3f, v55, -v6
	v_add_f32_e32 v3, v3, v7
	v_fmamk_f32 v7, v58, 0x3f62ad3f, v5
	v_fmac_f32_e32 v56, 0xbf788fa5, v55
	v_add_f32_e32 v1, v1, v12
	v_add_f32_e32 v4, v4, v11
	v_mul_f32_e32 v13, 0xbf29c268, v27
	v_fmac_f32_e32 v6, 0x3f62ad3f, v55
	v_fma_f32 v11, 0x3f62ad3f, v58, -v5
	v_add_f32_e32 v5, v7, v17
	v_mul_f32_e32 v12, 0xbf29c268, v57
	v_mul_f32_e32 v17, 0x3f52af12, v27
	v_add_f32_e32 v31, v31, v15
	v_add_f32_e32 v2, v56, v14
	v_fma_f32 v14, 0xbf3f9e67, v55, -v13
	v_add_f32_e32 v6, v6, v16
	v_add_f32_e32 v7, v11, v19
	v_fmamk_f32 v15, v58, 0xbf3f9e67, v12
	v_fmac_f32_e32 v13, 0xbf3f9e67, v55
	v_fma_f32 v16, 0x3f116cb1, v55, -v17
	v_mul_f32_e32 v19, 0x3f52af12, v57
	v_add_f32_e32 v11, v14, v30
	v_fma_f32 v14, 0xbf3f9e67, v58, -v12
	v_add_f32_e32 v12, v15, v24
	v_add_f32_e32 v13, v13, v21
	;; [unrolled: 1-line block ×3, first 2 shown]
	v_mul_f32_e32 v21, 0xbf6f5d39, v27
	v_fmamk_f32 v16, v58, 0x3f116cb1, v19
	v_mul_f32_e32 v24, 0xbf6f5d39, v57
	v_add_f32_e32 v14, v14, v18
	v_fmac_f32_e32 v17, 0x3f116cb1, v55
	v_fma_f32 v18, 0x3f116cb1, v58, -v19
	v_fma_f32 v19, 0xbeb58ec6, v55, -v21
	v_add_f32_e32 v16, v16, v26
	v_fmac_f32_e32 v21, 0xbeb58ec6, v55
	v_mul_f32_e32 v26, 0x3f7e222b, v27
	v_mul_f32_e32 v27, 0x3f7e222b, v57
	v_fmamk_f32 v20, v58, 0xbeb58ec6, v24
	v_add_f32_e32 v17, v17, v22
	v_fma_f32 v22, 0xbeb58ec6, v58, -v24
	v_add_f32_e32 v21, v21, v23
	v_fma_f32 v23, 0x3df6dbef, v55, -v26
	v_fmamk_f32 v24, v58, 0x3df6dbef, v27
	v_fmac_f32_e32 v26, 0x3df6dbef, v55
	v_fma_f32 v27, 0x3df6dbef, v58, -v27
	v_add_f32_e32 v19, v19, v29
	v_add_f32_e32 v20, v20, v25
	ds_write2_b64 v10, v[8:9], v[0:1] offset1:1
	ds_write2_b64 v10, v[4:5], v[11:12] offset0:2 offset1:3
	v_mul_u32_u24_e32 v0, 12, v52
	v_add_f32_e32 v23, v23, v33
	v_add_f32_e32 v24, v24, v54
	;; [unrolled: 1-line block ×6, first 2 shown]
	ds_write2_b64 v10, v[15:16], v[19:20] offset0:4 offset1:5
	ds_write2_b64 v10, v[23:24], v[25:26] offset0:6 offset1:7
	;; [unrolled: 1-line block ×4, first 2 shown]
	v_lshlrev_b32_e32 v16, 3, v0
	ds_write_b64 v10, v[2:3] offset:96
	s_waitcnt lgkmcnt(0)
	s_barrier
	buffer_gl0_inv
	s_clause 0x3
	global_load_dwordx4 v[8:11], v16, s[26:27]
	global_load_dwordx4 v[4:7], v16, s[26:27] offset:32
	global_load_dwordx4 v[0:3], v16, s[26:27] offset:48
	;; [unrolled: 1-line block ×3, first 2 shown]
	v_mul_lo_u32 v17, v51, v52
	v_mov_b32_e32 v54, 3
	s_clause 0x1
	global_load_dwordx4 v[67:70], v16, s[26:27] offset:80
	global_load_dwordx4 v[77:80], v16, s[26:27] offset:16
	v_add_nc_u32_e32 v19, 13, v52
	v_bfe_u32 v18, v17, 8, 8
	v_lshlrev_b32_sdwa v16, v54, v17 dst_sel:DWORD dst_unused:UNUSED_PAD src0_sel:DWORD src1_sel:BYTE_0
	v_mul_lo_u32 v19, v51, v19
	v_bfe_u32 v17, v17, 16, 8
	v_lshl_or_b32 v18, v18, 3, 0x800
	s_clause 0x1
	global_load_dwordx2 v[93:94], v16, s[12:13]
	global_load_dwordx2 v[95:96], v18, s[12:13]
	v_add_nc_u32_e32 v16, 26, v52
	v_bfe_u32 v18, v19, 8, 8
	v_lshl_or_b32 v17, v17, 3, 0x1000
	v_lshlrev_b32_sdwa v20, v54, v19 dst_sel:DWORD dst_unused:UNUSED_PAD src0_sel:DWORD src1_sel:BYTE_0
	v_bfe_u32 v55, v19, 16, 8
	v_mul_lo_u32 v76, v51, v16
	v_add_nc_u32_e32 v16, 39, v52
	global_load_dwordx2 v[97:98], v17, s[12:13]
	v_lshl_or_b32 v17, v18, 3, 0x800
	v_add_nc_u32_e32 v18, 52, v52
	s_clause 0x1
	global_load_dwordx2 v[28:29], v20, s[12:13]
	global_load_dwordx2 v[30:31], v17, s[12:13]
	v_mul_lo_u32 v99, v51, v16
	v_bfe_u32 v16, v76, 8, 8
	v_lshlrev_b32_sdwa v17, v54, v76 dst_sel:DWORD dst_unused:UNUSED_PAD src0_sel:DWORD src1_sel:BYTE_0
	v_mul_lo_u32 v75, v51, v18
	v_lshl_or_b32 v16, v16, 3, 0x800
	s_clause 0x1
	global_load_dwordx2 v[26:27], v17, s[12:13]
	global_load_dwordx2 v[32:33], v16, s[12:13]
	v_bfe_u32 v20, v99, 8, 8
	v_lshlrev_b32_sdwa v16, v54, v99 dst_sel:DWORD dst_unused:UNUSED_PAD src0_sel:DWORD src1_sel:BYTE_0
	v_lshl_or_b32 v17, v20, 3, 0x800
	s_clause 0x1
	global_load_dwordx2 v[22:23], v16, s[12:13]
	global_load_dwordx2 v[24:25], v17, s[12:13]
	v_bfe_u32 v16, v75, 8, 8
	v_lshlrev_b32_sdwa v17, v54, v75 dst_sel:DWORD dst_unused:UNUSED_PAD src0_sel:DWORD src1_sel:BYTE_0
	v_lshl_or_b32 v16, v16, 3, 0x800
	s_clause 0x1
	global_load_dwordx2 v[18:19], v17, s[12:13]
	global_load_dwordx2 v[20:21], v16, s[12:13]
	v_lshl_or_b32 v16, v55, 3, 0x1000
	global_load_dwordx2 v[16:17], v16, s[12:13]
	ds_read2_b64 v[55:58], v50 offset0:13 offset1:26
	ds_read2_b64 v[61:64], v50 offset0:65 offset1:78
	;; [unrolled: 1-line block ×5, first 2 shown]
	s_waitcnt vmcnt(17) lgkmcnt(4)
	v_mul_f32_e32 v59, v9, v56
	v_mul_f32_e32 v74, v9, v55
	;; [unrolled: 1-line block ×4, first 2 shown]
	s_waitcnt vmcnt(16) lgkmcnt(3)
	v_mul_f32_e32 v60, v61, v5
	v_fma_f32 v11, v8, v55, -v59
	v_fmac_f32_e32 v74, v8, v56
	v_mul_f32_e32 v8, v62, v5
	v_mul_f32_e32 v5, v64, v7
	;; [unrolled: 1-line block ×3, first 2 shown]
	v_fma_f32 v66, v10, v57, -v9
	v_fmac_f32_e32 v60, v62, v4
	v_fma_f32 v61, v61, v4, -v8
	v_fma_f32 v56, v63, v6, -v5
	v_fmac_f32_e32 v55, v64, v6
	s_waitcnt vmcnt(15) lgkmcnt(2)
	v_mul_f32_e32 v6, v82, v1
	v_mul_f32_e32 v57, v81, v1
	;; [unrolled: 1-line block ×3, first 2 shown]
	ds_read_b64 v[4:5], v50 offset:312
	v_fmac_f32_e32 v65, v10, v58
	v_fma_f32 v58, v81, v0, -v6
	v_fmac_f32_e32 v57, v82, v0
	v_fma_f32 v63, v83, v2, -v1
	ds_read2_b32 v[0:1], v50 offset0:104 offset1:105
	v_mul_f32_e32 v62, v83, v3
	s_waitcnt vmcnt(14) lgkmcnt(3)
	v_mul_f32_e32 v3, v86, v13
	v_mul_f32_e32 v13, v85, v13
	;; [unrolled: 1-line block ×4, first 2 shown]
	v_fmac_f32_e32 v62, v84, v2
	v_fma_f32 v15, v85, v12, -v3
	v_fmac_f32_e32 v13, v86, v12
	v_fma_f32 v12, v87, v14, -v6
	s_waitcnt vmcnt(13) lgkmcnt(2)
	v_mul_f32_e32 v3, v92, v70
	v_fmac_f32_e32 v64, v88, v14
	v_mul_f32_e32 v2, v90, v68
	v_mul_f32_e32 v68, v89, v68
	;; [unrolled: 1-line block ×3, first 2 shown]
	s_waitcnt vmcnt(12) lgkmcnt(1)
	v_mul_f32_e32 v6, v78, v5
	v_fma_f32 v72, v91, v69, -v3
	v_mul_f32_e32 v70, v78, v4
	v_fma_f32 v73, v89, v67, -v2
	v_fmac_f32_e32 v68, v90, v67
	v_fma_f32 v71, v77, v4, -v6
	s_waitcnt lgkmcnt(0)
	v_mul_f32_e32 v3, v1, v80
	s_waitcnt vmcnt(10)
	v_mul_f32_e32 v4, v94, v96
	v_fmac_f32_e32 v14, v92, v69
	v_mul_f32_e32 v2, v93, v96
	v_mul_f32_e32 v67, v80, v0
	v_fma_f32 v69, v79, v0, -v3
	v_fma_f32 v0, v93, v95, -v4
	ds_read_b64 v[8:9], v53
	v_fmac_f32_e32 v2, v94, v95
	v_fmac_f32_e32 v67, v1, v79
	v_bfe_u32 v1, v99, 16, 8
	s_waitcnt vmcnt(9)
	v_mul_f32_e32 v59, v0, v98
	v_fmac_f32_e32 v70, v77, v5
	v_mul_f32_e32 v3, v2, v98
	v_sub_f32_e32 v10, v74, v14
	v_lshl_or_b32 v1, v1, 3, 0x1000
	v_fmac_f32_e32 v59, v97, v2
	v_bfe_u32 v2, v76, 16, 8
	v_fma_f32 v53, v97, v0, -v3
	s_waitcnt vmcnt(7)
	v_mul_f32_e32 v0, v29, v31
	v_mul_f32_e32 v31, v28, v31
	global_load_dwordx2 v[4:5], v1, s[12:13]
	v_lshl_or_b32 v2, v2, 3, 0x1000
	v_add_f32_e32 v77, v11, v72
	v_fma_f32 v76, v28, v30, -v0
	s_waitcnt vmcnt(6)
	v_mul_f32_e32 v28, v26, v33
	v_mul_f32_e32 v0, v27, v33
	global_load_dwordx2 v[6:7], v2, s[12:13]
	s_waitcnt vmcnt(5)
	v_mul_f32_e32 v2, v23, v25
	v_fmac_f32_e32 v31, v29, v30
	v_mul_f32_e32 v25, v22, v25
	v_fmac_f32_e32 v28, v27, v32
	v_mul_f32_e32 v78, 0xbeedf032, v10
	v_fma_f32 v27, v22, v24, -v2
	s_waitcnt vmcnt(3)
	v_mul_f32_e32 v22, v19, v21
	v_mul_f32_e32 v21, v18, v21
	v_fma_f32 v26, v26, v32, -v0
	v_mul_f32_e32 v30, 0xbf52af12, v10
	v_fmac_f32_e32 v25, v23, v24
	v_mul_f32_e32 v24, 0xbf7e222b, v10
	v_fmac_f32_e32 v21, v19, v20
	s_waitcnt vmcnt(2)
	v_mul_f32_e32 v19, v31, v17
	v_fma_f32 v22, v18, v20, -v22
	v_mul_f32_e32 v18, v76, v17
	v_mul_f32_e32 v32, 0xbf6f5d39, v10
	;; [unrolled: 1-line block ×3, first 2 shown]
	v_fma_f32 v17, v16, v76, -v19
	v_mul_f32_e32 v19, 0xbf29c268, v10
	v_sub_f32_e32 v10, v11, v72
	s_waitcnt lgkmcnt(0)
	v_add_f32_e32 v11, v11, v8
	v_add_nc_u32_e32 v3, 0x41, v52
	v_fma_f32 v79, 0x3f62ad3f, v77, -v78
	v_fmac_f32_e32 v78, 0x3f62ad3f, v77
	v_bfe_u32 v1, v75, 16, 8
	v_fma_f32 v23, 0x3f116cb1, v77, -v30
	v_fmac_f32_e32 v30, 0x3f116cb1, v77
	v_fma_f32 v20, 0x3df6dbef, v77, -v24
	v_fmac_f32_e32 v24, 0x3df6dbef, v77
	v_fmac_f32_e32 v18, v16, v31
	v_fma_f32 v16, 0xbeb58ec6, v77, -v32
	v_fmac_f32_e32 v32, 0xbeb58ec6, v77
	v_fma_f32 v31, 0xbf3f9e67, v77, -v19
	v_fmac_f32_e32 v19, 0xbf3f9e67, v77
	v_add_f32_e32 v75, v74, v14
	v_mul_f32_e32 v76, 0xbeedf032, v10
	v_fma_f32 v80, 0xbf788fa5, v77, -v33
	v_mul_f32_e32 v81, 0xbf52af12, v10
	v_fmac_f32_e32 v33, 0xbf788fa5, v77
	v_mul_f32_e32 v77, 0xbf7e222b, v10
	v_mul_f32_e32 v84, 0xbf6f5d39, v10
	;; [unrolled: 1-line block ×4, first 2 shown]
	v_add_f32_e32 v74, v74, v9
	v_add_f32_e32 v11, v11, v66
	v_mul_lo_u32 v29, v51, v3
	v_fmamk_f32 v82, v75, 0x3f62ad3f, v76
	v_fma_f32 v76, 0x3f62ad3f, v75, -v76
	v_fmamk_f32 v83, v75, 0x3f116cb1, v81
	v_fma_f32 v81, 0x3f116cb1, v75, -v81
	;; [unrolled: 2-line block ×6, first 2 shown]
	v_add_f32_e32 v10, v74, v65
	v_add_f32_e32 v11, v11, v71
	v_lshl_or_b32 v0, v1, 3, 0x1000
	v_lshlrev_b32_sdwa v3, v54, v29 dst_sel:DWORD dst_unused:UNUSED_PAD src0_sel:DWORD src1_sel:BYTE_0
	v_add_f32_e32 v74, v82, v9
	v_add_f32_e32 v10, v10, v70
	v_add_f32_e32 v11, v11, v69
	v_bfe_u32 v82, v29, 8, 8
	s_clause 0x1
	global_load_dwordx2 v[0:1], v0, s[12:13]
	global_load_dwordx2 v[2:3], v3, s[12:13]
	v_add_f32_e32 v79, v79, v8
	v_add_f32_e32 v10, v10, v67
	;; [unrolled: 1-line block ×3, first 2 shown]
	v_lshl_or_b32 v82, v82, 3, 0x800
	v_add_f32_e32 v78, v78, v8
	v_add_f32_e32 v23, v23, v8
	v_add_f32_e32 v90, v10, v60
	v_add_f32_e32 v91, v11, v56
	global_load_dwordx2 v[10:11], v82, s[12:13]
	v_add_f32_e32 v82, v85, v9
	v_add_f32_e32 v30, v30, v8
	;; [unrolled: 1-line block ×16, first 2 shown]
	v_sub_f32_e32 v33, v65, v68
	v_add_f32_e32 v16, v16, v13
	v_add_f32_e32 v19, v85, v12
	;; [unrolled: 1-line block ×3, first 2 shown]
	v_sub_f32_e32 v89, v66, v73
	v_add_f32_e32 v66, v66, v73
	v_add_f32_e32 v16, v16, v64
	;; [unrolled: 1-line block ×3, first 2 shown]
	v_mul_f32_e32 v73, 0xbf52af12, v33
	v_add_f32_e32 v76, v76, v9
	v_add_f32_e32 v83, v83, v9
	;; [unrolled: 1-line block ×10, first 2 shown]
	v_mul_f32_e32 v68, 0xbf52af12, v89
	v_add_f32_e32 v9, v75, v9
	v_fma_f32 v75, 0x3f116cb1, v66, -v73
	v_add_f32_e32 v19, v19, v72
	v_add_f32_e32 v16, v16, v14
	v_fmamk_f32 v14, v65, 0x3f116cb1, v68
	v_mul_f32_e32 v72, 0xbf6f5d39, v33
	v_add_f32_e32 v75, v75, v79
	v_fmac_f32_e32 v73, 0x3f116cb1, v66
	v_fma_f32 v68, 0x3f116cb1, v65, -v68
	v_mul_f32_e32 v79, 0xbf6f5d39, v89
	v_fma_f32 v92, 0xbeb58ec6, v66, -v72
	v_fmac_f32_e32 v72, 0xbeb58ec6, v66
	v_add_f32_e32 v73, v73, v78
	v_add_f32_e32 v68, v68, v76
	v_mul_f32_e32 v76, 0xbe750f2a, v33
	v_fma_f32 v78, 0xbeb58ec6, v65, -v79
	v_add_f32_e32 v14, v14, v74
	v_fmamk_f32 v74, v65, 0xbeb58ec6, v79
	v_mul_f32_e32 v79, 0xbe750f2a, v89
	v_add_f32_e32 v30, v72, v30
	v_fma_f32 v72, 0xbf788fa5, v66, -v76
	v_add_f32_e32 v78, v78, v81
	v_mul_f32_e32 v81, 0x3f29c268, v33
	v_add_f32_e32 v23, v92, v23
	v_add_f32_e32 v74, v74, v83
	v_fmamk_f32 v83, v65, 0xbf788fa5, v79
	v_fmac_f32_e32 v76, 0xbf788fa5, v66
	v_add_f32_e32 v20, v72, v20
	v_fma_f32 v72, 0xbf788fa5, v65, -v79
	v_fma_f32 v79, 0xbf3f9e67, v66, -v81
	v_mul_f32_e32 v92, 0x3f29c268, v89
	v_add_f32_e32 v82, v83, v82
	v_add_f32_e32 v24, v76, v24
	;; [unrolled: 1-line block ×4, first 2 shown]
	v_fmamk_f32 v77, v65, 0xbf3f9e67, v92
	v_fmac_f32_e32 v81, 0xbf3f9e67, v66
	v_mul_f32_e32 v79, 0x3f7e222b, v33
	v_mul_f32_e32 v83, 0x3f7e222b, v89
	;; [unrolled: 1-line block ×3, first 2 shown]
	v_add_f32_e32 v77, v77, v87
	v_add_f32_e32 v32, v81, v32
	v_fma_f32 v81, 0x3df6dbef, v66, -v79
	v_fmamk_f32 v87, v65, 0x3df6dbef, v83
	v_fmac_f32_e32 v79, 0x3df6dbef, v66
	v_fma_f32 v83, 0x3df6dbef, v65, -v83
	v_fma_f32 v91, 0xbf3f9e67, v65, -v92
	v_add_f32_e32 v31, v81, v31
	v_add_f32_e32 v81, v87, v88
	v_mul_f32_e32 v87, 0x3eedf032, v89
	v_fma_f32 v88, 0x3f62ad3f, v66, -v33
	v_fmac_f32_e32 v33, 0x3f62ad3f, v66
	v_sub_f32_e32 v66, v70, v64
	v_add_f32_e32 v83, v83, v86
	v_fmamk_f32 v89, v65, 0x3f62ad3f, v87
	v_fma_f32 v65, 0x3f62ad3f, v65, -v87
	v_add_f32_e32 v86, v71, v12
	v_mul_f32_e32 v87, 0xbf7e222b, v66
	v_sub_f32_e32 v12, v71, v12
	v_add_f32_e32 v71, v88, v80
	v_add_f32_e32 v80, v89, v85
	;; [unrolled: 1-line block ×3, first 2 shown]
	v_fma_f32 v70, 0x3df6dbef, v86, -v87
	v_mul_f32_e32 v85, 0xbf7e222b, v12
	v_add_f32_e32 v8, v33, v8
	v_add_f32_e32 v9, v65, v9
	v_mul_f32_e32 v33, 0xbe750f2a, v66
	v_add_f32_e32 v65, v70, v75
	v_fmamk_f32 v70, v64, 0x3df6dbef, v85
	v_fmac_f32_e32 v87, 0x3df6dbef, v86
	v_fma_f32 v75, 0x3df6dbef, v64, -v85
	v_mul_f32_e32 v88, 0xbe750f2a, v12
	v_fma_f32 v85, 0xbf788fa5, v86, -v33
	v_add_f32_e32 v14, v70, v14
	v_add_f32_e32 v70, v87, v73
	v_add_f32_e32 v68, v75, v68
	v_fmamk_f32 v73, v64, 0xbf788fa5, v88
	v_mul_f32_e32 v75, 0x3f6f5d39, v66
	v_fmac_f32_e32 v33, 0xbf788fa5, v86
	v_add_f32_e32 v23, v85, v23
	v_mul_f32_e32 v85, 0x3f6f5d39, v12
	v_fma_f32 v87, 0xbf788fa5, v64, -v88
	v_add_f32_e32 v73, v73, v74
	v_fma_f32 v74, 0xbeb58ec6, v86, -v75
	v_add_f32_e32 v30, v33, v30
	v_mul_f32_e32 v33, 0x3eedf032, v66
	v_fmamk_f32 v88, v64, 0xbeb58ec6, v85
	v_add_f32_e32 v78, v87, v78
	v_add_f32_e32 v20, v74, v20
	v_fmac_f32_e32 v75, 0xbeb58ec6, v86
	v_fma_f32 v74, 0xbeb58ec6, v64, -v85
	v_fma_f32 v85, 0x3f62ad3f, v86, -v33
	v_mul_f32_e32 v87, 0x3eedf032, v12
	v_fmac_f32_e32 v33, 0x3f62ad3f, v86
	v_add_f32_e32 v24, v75, v24
	v_add_f32_e32 v72, v74, v72
	;; [unrolled: 1-line block ×3, first 2 shown]
	v_fmamk_f32 v75, v64, 0x3f62ad3f, v87
	v_mul_f32_e32 v76, 0xbf52af12, v66
	v_mul_f32_e32 v85, 0xbf52af12, v12
	v_add_f32_e32 v32, v33, v32
	v_mul_f32_e32 v12, 0xbf29c268, v12
	v_add_f32_e32 v75, v75, v77
	v_fma_f32 v33, 0x3f116cb1, v86, -v76
	v_fmamk_f32 v77, v64, 0x3f116cb1, v85
	v_add_f32_e32 v79, v79, v90
	v_fma_f32 v87, 0x3f62ad3f, v64, -v87
	v_fmac_f32_e32 v76, 0x3f116cb1, v86
	v_mul_f32_e32 v66, 0xbf29c268, v66
	v_add_f32_e32 v31, v33, v31
	v_add_f32_e32 v33, v77, v81
	v_fma_f32 v81, 0x3f116cb1, v64, -v85
	v_fmamk_f32 v85, v64, 0xbf3f9e67, v12
	v_fma_f32 v12, 0xbf3f9e67, v64, -v12
	v_add_f32_e32 v64, v69, v15
	v_sub_f32_e32 v15, v69, v15
	v_add_f32_e32 v76, v76, v79
	v_fma_f32 v77, 0xbf3f9e67, v86, -v66
	v_fmac_f32_e32 v66, 0xbf3f9e67, v86
	v_sub_f32_e32 v79, v67, v13
	v_add_f32_e32 v13, v67, v13
	v_mul_f32_e32 v67, 0xbf6f5d39, v15
	v_add_f32_e32 v81, v81, v83
	v_add_f32_e32 v69, v77, v71
	;; [unrolled: 1-line block ×5, first 2 shown]
	v_mul_f32_e32 v8, 0x3f29c268, v79
	v_fmamk_f32 v9, v13, 0xbeb58ec6, v67
	v_mul_f32_e32 v66, 0x3f29c268, v15
	v_mul_f32_e32 v86, 0xbf6f5d39, v79
	v_fma_f32 v12, 0xbeb58ec6, v13, -v67
	v_fma_f32 v67, 0xbf3f9e67, v64, -v8
	v_add_f32_e32 v14, v9, v14
	v_fmamk_f32 v9, v13, 0xbf3f9e67, v66
	v_fma_f32 v77, 0xbeb58ec6, v64, -v86
	v_add_f32_e32 v82, v88, v82
	v_add_f32_e32 v85, v67, v23
	v_fma_f32 v23, 0xbf3f9e67, v13, -v66
	v_add_f32_e32 v73, v9, v73
	v_mul_f32_e32 v9, 0x3eedf032, v15
	v_add_f32_e32 v65, v77, v65
	v_add_f32_e32 v77, v12, v68
	v_mul_f32_e32 v12, 0x3eedf032, v79
	v_add_f32_e32 v78, v23, v78
	v_fmamk_f32 v23, v13, 0x3f62ad3f, v9
	v_add_f32_e32 v84, v91, v84
	v_fmac_f32_e32 v86, 0xbeb58ec6, v64
	v_fma_f32 v66, 0x3f62ad3f, v64, -v12
	v_fmac_f32_e32 v12, 0x3f62ad3f, v64
	v_add_f32_e32 v82, v23, v82
	v_mul_f32_e32 v23, 0xbf7e222b, v15
	v_fmac_f32_e32 v8, 0xbf3f9e67, v64
	v_add_f32_e32 v84, v87, v84
	v_add_f32_e32 v87, v12, v24
	;; [unrolled: 1-line block ×3, first 2 shown]
	v_fmamk_f32 v12, v13, 0x3df6dbef, v23
	v_add_f32_e32 v86, v8, v30
	v_mul_f32_e32 v8, 0xbf7e222b, v79
	v_fma_f32 v9, 0x3f62ad3f, v13, -v9
	v_mul_f32_e32 v24, 0x3e750f2a, v15
	v_add_f32_e32 v75, v12, v75
	v_add_nc_u32_e32 v12, 0x4e, v52
	v_fma_f32 v30, 0x3df6dbef, v64, -v8
	v_add_f32_e32 v88, v9, v72
	v_mul_f32_e32 v9, 0x3e750f2a, v79
	v_fmac_f32_e32 v8, 0x3df6dbef, v64
	v_mul_lo_u32 v91, v51, v12
	v_add_f32_e32 v74, v30, v74
	v_mul_f32_e32 v68, 0x3f52af12, v79
	v_fma_f32 v30, 0xbf788fa5, v64, -v9
	v_fmac_f32_e32 v9, 0xbf788fa5, v64
	v_fma_f32 v23, 0x3df6dbef, v13, -v23
	v_add_f32_e32 v89, v8, v32
	v_mul_f32_e32 v12, 0x3f52af12, v15
	v_fma_f32 v8, 0xbf788fa5, v13, -v24
	v_fma_f32 v15, 0x3f116cb1, v64, -v68
	v_add_f32_e32 v32, v9, v76
	v_bfe_u32 v9, v91, 8, 8
	v_fmac_f32_e32 v68, 0x3f116cb1, v64
	v_sub_f32_e32 v64, v60, v62
	v_add_f32_e32 v20, v66, v20
	v_fmamk_f32 v66, v13, 0xbf788fa5, v24
	v_add_f32_e32 v84, v23, v84
	v_add_f32_e32 v90, v30, v31
	;; [unrolled: 1-line block ×4, first 2 shown]
	v_lshl_or_b32 v8, v9, 3, 0x800
	v_lshlrev_b32_sdwa v15, v54, v91 dst_sel:DWORD dst_unused:UNUSED_PAD src0_sel:DWORD src1_sel:BYTE_0
	v_add_f32_e32 v30, v61, v63
	v_sub_f32_e32 v72, v61, v63
	v_mul_f32_e32 v63, 0xbf29c268, v64
	v_add_f32_e32 v31, v66, v33
	v_fmamk_f32 v33, v13, 0x3f116cb1, v12
	global_load_dwordx2 v[8:9], v8, s[12:13]
	v_fma_f32 v61, 0x3f116cb1, v13, -v12
	global_load_dwordx2 v[12:13], v15, s[12:13]
	v_add_f32_e32 v67, v60, v62
	v_mul_f32_e32 v62, 0xbf29c268, v72
	v_fma_f32 v15, 0xbf3f9e67, v30, -v63
	v_add_f32_e32 v66, v33, v71
	v_add_f32_e32 v33, v68, v80
	;; [unrolled: 1-line block ×3, first 2 shown]
	v_fmamk_f32 v68, v67, 0xbf3f9e67, v62
	v_add_f32_e32 v61, v15, v65
	v_mul_f32_e32 v15, 0x3f7e222b, v64
	v_fmac_f32_e32 v63, 0xbf3f9e67, v30
	v_mul_f32_e32 v65, 0x3f7e222b, v72
	v_fma_f32 v62, 0xbf3f9e67, v67, -v62
	v_add_f32_e32 v68, v68, v14
	v_fma_f32 v14, 0x3df6dbef, v30, -v15
	v_mul_f32_e32 v76, 0xbf52af12, v64
	v_add_f32_e32 v69, v63, v70
	v_fmamk_f32 v63, v67, 0x3df6dbef, v65
	v_add_f32_e32 v70, v62, v77
	v_add_f32_e32 v71, v14, v85
	v_fmac_f32_e32 v15, 0x3df6dbef, v30
	v_mul_f32_e32 v14, 0xbf52af12, v72
	v_fma_f32 v65, 0x3df6dbef, v67, -v65
	v_fma_f32 v77, 0x3f116cb1, v30, -v76
	v_add_f32_e32 v73, v63, v73
	v_add_f32_e32 v62, v15, v86
	v_fmamk_f32 v15, v67, 0x3f116cb1, v14
	v_add_f32_e32 v63, v65, v78
	v_add_f32_e32 v65, v77, v20
	v_mul_f32_e32 v77, 0x3e750f2a, v64
	v_fmac_f32_e32 v76, 0x3f116cb1, v30
	v_add_f32_e32 v20, v15, v82
	v_bfe_u32 v15, v29, 16, 8
	v_mul_f32_e32 v78, 0x3e750f2a, v72
	v_fma_f32 v79, 0xbf788fa5, v30, -v77
	v_add_nc_u32_e32 v80, 0x5b, v52
	v_fma_f32 v14, 0x3f116cb1, v67, -v14
	v_add_f32_e32 v29, v76, v87
	v_lshl_or_b32 v15, v15, 3, 0x1000
	v_fmamk_f32 v76, v67, 0xbf788fa5, v78
	v_add_f32_e32 v98, v79, v74
	v_bfe_u32 v74, v91, 16, 8
	v_mul_lo_u32 v81, v51, v80
	v_add_f32_e32 v97, v14, v88
	global_load_dwordx2 v[14:15], v15, s[12:13]
	v_add_f32_e32 v99, v76, v75
	v_fma_f32 v75, 0xbf788fa5, v67, -v78
	v_lshl_or_b32 v76, v74, 3, 0x1000
	v_fmac_f32_e32 v77, 0xbf788fa5, v30
	v_add_nc_u32_e32 v79, 0x68, v52
	v_bfe_u32 v78, v81, 8, 8
	v_add_f32_e32 v101, v75, v84
	global_load_dwordx2 v[75:76], v76, s[12:13]
	v_add_f32_e32 v74, v77, v89
	s_waitcnt vmcnt(7)
	v_mul_f32_e32 v77, v28, v7
	v_mul_f32_e32 v102, v26, v7
	v_mul_lo_u32 v7, v51, v79
	v_lshlrev_b32_sdwa v80, v54, v81 dst_sel:DWORD dst_unused:UNUSED_PAD src0_sel:DWORD src1_sel:BYTE_0
	v_lshl_or_b32 v82, v78, 3, 0x800
	v_fma_f32 v103, v6, v26, -v77
	v_mul_f32_e32 v26, v25, v5
	s_clause 0x1
	global_load_dwordx2 v[77:78], v80, s[12:13]
	global_load_dwordx2 v[79:80], v82, s[12:13]
	v_fmac_f32_e32 v102, v6, v28
	v_bfe_u32 v6, v81, 16, 8
	v_mul_f32_e32 v28, v27, v5
	v_bfe_u32 v5, v7, 8, 8
	v_fma_f32 v105, v4, v27, -v26
	v_add_nc_u32_e32 v26, 0x75, v52
	v_mul_f32_e32 v100, 0x3eedf032, v64
	v_lshl_or_b32 v6, v6, 3, 0x1000
	v_lshlrev_b32_sdwa v27, v54, v7 dst_sel:DWORD dst_unused:UNUSED_PAD src0_sel:DWORD src1_sel:BYTE_0
	v_lshl_or_b32 v81, v5, 3, 0x800
	v_mul_lo_u32 v87, v51, v26
	v_fma_f32 v83, 0x3f62ad3f, v30, -v100
	global_load_dwordx2 v[5:6], v6, s[12:13]
	v_bfe_u32 v7, v7, 16, 8
	s_clause 0x1
	global_load_dwordx2 v[26:27], v27, s[12:13]
	global_load_dwordx2 v[81:82], v81, s[12:13]
	v_fmac_f32_e32 v28, v4, v25
	v_add_f32_e32 v4, v83, v90
	v_add_nc_u32_e32 v83, 0x82, v52
	v_lshl_or_b32 v7, v7, 3, 0x1000
	v_bfe_u32 v85, v87, 8, 8
	s_waitcnt vmcnt(11)
	v_mul_f32_e32 v25, v21, v1
	v_mul_f32_e32 v106, v22, v1
	v_mul_lo_u32 v93, v51, v83
	v_lshlrev_b32_sdwa v1, v54, v87 dst_sel:DWORD dst_unused:UNUSED_PAD src0_sel:DWORD src1_sel:BYTE_0
	global_load_dwordx2 v[83:84], v7, s[12:13]
	v_lshl_or_b32 v7, v85, 3, 0x800
	v_fma_f32 v25, v0, v22, -v25
	s_waitcnt vmcnt(10)
	v_mul_f32_e32 v22, v3, v11
	global_load_dwordx2 v[85:86], v1, s[12:13]
	v_bfe_u32 v1, v87, 16, 8
	global_load_dwordx2 v[87:88], v7, s[12:13]
	v_mul_f32_e32 v107, v2, v11
	v_bfe_u32 v7, v93, 8, 8
	v_add_nc_u32_e32 v11, 0x8f, v52
	v_add_nc_u32_e32 v52, 0x9c, v52
	v_lshl_or_b32 v1, v1, 3, 0x1000
	v_lshlrev_b32_sdwa v89, v54, v93 dst_sel:DWORD dst_unused:UNUSED_PAD src0_sel:DWORD src1_sel:BYTE_0
	v_lshl_or_b32 v7, v7, 3, 0x800
	v_mul_lo_u32 v94, v51, v11
	v_mul_lo_u32 v95, v51, v52
	s_clause 0x2
	global_load_dwordx2 v[51:52], v1, s[12:13]
	global_load_dwordx2 v[89:90], v89, s[12:13]
	;; [unrolled: 1-line block ×3, first 2 shown]
	v_bfe_u32 v1, v93, 16, 8
	v_fmac_f32_e32 v106, v0, v21
	v_fma_f32 v108, v2, v10, -v22
	v_fmac_f32_e32 v107, v3, v10
	v_mul_f32_e32 v104, 0x3eedf032, v72
	v_bfe_u32 v0, v94, 8, 8
	v_lshl_or_b32 v1, v1, 3, 0x1000
	v_bfe_u32 v2, v95, 8, 8
	v_lshlrev_b32_sdwa v3, v54, v94 dst_sel:DWORD dst_unused:UNUSED_PAD src0_sel:DWORD src1_sel:BYTE_0
	v_lshlrev_b32_sdwa v21, v54, v95 dst_sel:DWORD dst_unused:UNUSED_PAD src0_sel:DWORD src1_sel:BYTE_0
	v_lshl_or_b32 v7, v0, 3, 0x800
	global_load_dwordx2 v[0:1], v1, s[12:13]
	v_lshl_or_b32 v54, v2, 3, 0x800
	s_clause 0x1
	global_load_dwordx2 v[2:3], v3, s[12:13]
	global_load_dwordx2 v[10:11], v7, s[12:13]
	v_bfe_u32 v7, v94, 16, 8
	s_clause 0x1
	global_load_dwordx2 v[21:22], v21, s[12:13]
	global_load_dwordx2 v[93:94], v54, s[12:13]
	v_bfe_u32 v54, v95, 16, 8
	v_fmamk_f32 v95, v67, 0x3f62ad3f, v104
	v_fmac_f32_e32 v100, 0x3f62ad3f, v30
	v_lshl_or_b32 v7, v7, 3, 0x1000
	v_lshl_or_b32 v54, v54, 3, 0x1000
	v_add_f32_e32 v109, v95, v31
	v_add_f32_e32 v100, v100, v32
	s_clause 0x1
	global_load_dwordx2 v[95:96], v7, s[12:13]
	global_load_dwordx2 v[31:32], v54, s[12:13]
	v_fma_f32 v7, 0x3f62ad3f, v67, -v104
	v_mul_f32_e32 v54, 0xbf6f5d39, v64
	v_sub_f32_e32 v104, v55, v57
	v_add_f32_e32 v55, v55, v57
	s_waitcnt vmcnt(0)
	v_add_f32_e32 v64, v7, v24
	v_fma_f32 v7, 0xbeb58ec6, v30, -v54
	v_mul_f32_e32 v24, 0xbf6f5d39, v72
	v_fmac_f32_e32 v54, 0xbeb58ec6, v30
	v_sub_f32_e32 v30, v56, v58
	v_add_f32_e32 v56, v56, v58
	v_add_f32_e32 v72, v7, v23
	v_fmamk_f32 v7, v67, 0xbeb58ec6, v24
	v_fma_f32 v23, 0xbeb58ec6, v67, -v24
	v_mul_f32_e32 v24, 0xbe750f2a, v104
	v_mul_f32_e32 v57, 0xbe750f2a, v30
	v_add_f32_e32 v33, v54, v33
	v_add_f32_e32 v58, v7, v66
	;; [unrolled: 1-line block ×3, first 2 shown]
	v_fma_f32 v7, 0xbf788fa5, v56, -v24
	v_fmamk_f32 v23, v55, 0xbf788fa5, v57
	v_mul_f32_e32 v60, 0x3eedf032, v104
	v_fmac_f32_e32 v24, 0xbf788fa5, v56
	v_fma_f32 v57, 0xbf788fa5, v55, -v57
	v_add_f32_e32 v7, v7, v61
	v_mul_f32_e32 v61, 0x3eedf032, v30
	v_add_f32_e32 v66, v23, v68
	v_fma_f32 v23, 0x3f62ad3f, v56, -v60
	v_add_f32_e32 v67, v24, v69
	v_mul_f32_e32 v68, v16, v59
	v_fmamk_f32 v24, v55, 0x3f62ad3f, v61
	v_add_f32_e32 v57, v57, v70
	v_add_f32_e32 v69, v23, v71
	v_fmac_f32_e32 v60, 0x3f62ad3f, v56
	v_mul_f32_e32 v70, 0xbf29c268, v104
	v_add_f32_e32 v71, v24, v73
	v_mul_f32_e32 v24, v19, v59
	v_fma_f32 v61, 0x3f62ad3f, v55, -v61
	v_fma_f32 v23, v19, v53, -v68
	;; [unrolled: 1-line block ×3, first 2 shown]
	v_add_f32_e32 v60, v60, v62
	v_fmac_f32_e32 v24, v16, v53
	v_fmac_f32_e32 v70, 0xbf3f9e67, v56
	v_mul_f32_e32 v53, 0x3f52af12, v104
	v_mul_f32_e32 v62, 0x3f52af12, v30
	v_add_f32_e32 v61, v61, v63
	v_add_f32_e32 v19, v19, v65
	s_barrier
	buffer_gl0_inv
	v_mul_f32_e32 v59, v13, v9
	v_mul_f32_e32 v9, v12, v9
	v_fma_f32 v59, v12, v8, -v59
	v_mul_f32_e32 v12, 0xbf29c268, v30
	v_fmac_f32_e32 v9, v13, v8
	v_mul_f32_e32 v13, v66, v18
	v_mul_f32_e32 v8, v7, v18
	v_fmamk_f32 v16, v55, 0xbf3f9e67, v12
	v_fma_f32 v7, v7, v17, -v13
	v_fmac_f32_e32 v8, v66, v17
	v_mul_f32_e32 v17, v71, v102
	v_add_f32_e32 v18, v16, v20
	v_fma_f32 v16, 0xbf3f9e67, v55, -v12
	v_add_f32_e32 v20, v70, v29
	v_mul_f32_e32 v13, v69, v102
	v_fma_f32 v12, v69, v103, -v17
	v_fma_f32 v17, 0x3f116cb1, v56, -v53
	v_add_f32_e32 v63, v16, v97
	v_fmamk_f32 v16, v55, 0x3f116cb1, v62
	v_mul_f32_e32 v29, v18, v28
	v_mul_f32_e32 v66, 0xbf6f5d39, v104
	;; [unrolled: 1-line block ×4, first 2 shown]
	v_fmac_f32_e32 v13, v71, v103
	v_add_f32_e32 v65, v17, v98
	v_add_f32_e32 v68, v16, v99
	v_fma_f32 v16, v19, v105, -v29
	v_fma_f32 v29, 0xbeb58ec6, v56, -v66
	v_fmamk_f32 v71, v55, 0xbeb58ec6, v69
	v_mul_f32_e32 v17, v19, v28
	v_fma_f32 v19, 0x3df6dbef, v56, -v70
	v_mul_f32_e32 v30, 0x3f7e222b, v30
	v_add_f32_e32 v4, v29, v4
	v_add_f32_e32 v29, v71, v109
	v_fmac_f32_e32 v17, v18, v105
	v_add_f32_e32 v72, v19, v72
	v_mul_f32_e32 v19, v68, v106
	v_fmamk_f32 v28, v55, 0x3df6dbef, v30
	v_fma_f32 v62, 0x3f116cb1, v55, -v62
	v_mul_f32_e32 v71, v108, v15
	v_mul_f32_e32 v15, v107, v15
	v_fma_f32 v18, v65, v25, -v19
	v_mul_f32_e32 v19, v65, v106
	v_add_f32_e32 v58, v28, v58
	v_fmac_f32_e32 v71, v14, v107
	v_fma_f32 v28, v14, v108, -v15
	v_fmac_f32_e32 v70, 0x3df6dbef, v56
	v_mul_f32_e32 v65, v59, v76
	v_fmac_f32_e32 v19, v68, v25
	v_mul_f32_e32 v14, v29, v71
	v_mul_f32_e32 v15, v4, v71
	;; [unrolled: 1-line block ×3, first 2 shown]
	v_fmac_f32_e32 v65, v75, v9
	v_fmac_f32_e32 v66, 0xbeb58ec6, v56
	v_fma_f32 v14, v4, v28, -v14
	v_fmac_f32_e32 v15, v29, v28
	v_fma_f32 v9, v75, v59, -v71
	v_mul_f32_e32 v4, v77, v80
	v_mul_f32_e32 v25, v58, v65
	;; [unrolled: 1-line block ×4, first 2 shown]
	v_fmac_f32_e32 v53, 0x3f116cb1, v56
	v_fmac_f32_e32 v4, v78, v79
	v_fma_f32 v28, v72, v9, -v25
	v_fma_f32 v25, v77, v79, -v59
	v_add_f32_e32 v59, v62, v101
	v_fmac_f32_e32 v29, v58, v9
	v_add_f32_e32 v65, v66, v100
	v_add_f32_e32 v53, v53, v74
	v_mul_f32_e32 v62, v4, v6
	v_mul_f32_e32 v6, v25, v6
	;; [unrolled: 1-line block ×4, first 2 shown]
	v_fma_f32 v25, v5, v25, -v62
	v_fmac_f32_e32 v6, v5, v4
	v_fmac_f32_e32 v9, v27, v81
	v_fma_f32 v4, v26, v81, -v58
	v_fma_f32 v62, 0xbeb58ec6, v55, -v69
	;; [unrolled: 1-line block ×3, first 2 shown]
	v_add_f32_e32 v30, v70, v33
	v_mul_f32_e32 v26, v9, v84
	v_mul_f32_e32 v33, v4, v84
	v_add_f32_e32 v27, v62, v64
	v_add_f32_e32 v54, v5, v54
	v_mul_f32_e32 v5, v30, v6
	v_fma_f32 v55, v83, v4, -v26
	v_mul_f32_e32 v4, v86, v88
	v_fmac_f32_e32 v33, v83, v9
	v_mul_f32_e32 v9, v85, v88
	v_mul_f32_e32 v26, v54, v6
	v_fmac_f32_e32 v5, v54, v25
	v_fma_f32 v6, v85, v87, -v4
	v_mul_f32_e32 v56, v27, v33
	v_fmac_f32_e32 v9, v86, v87
	v_fma_f32 v4, v30, v25, -v26
	v_mul_f32_e32 v26, v65, v33
	v_mul_f32_e32 v30, v6, v52
	v_fma_f32 v25, v65, v55, -v56
	v_mul_f32_e32 v54, v90, v92
	v_mul_f32_e32 v56, v89, v92
	;; [unrolled: 1-line block ×3, first 2 shown]
	v_fmac_f32_e32 v30, v51, v9
	v_fmac_f32_e32 v26, v27, v55
	v_fma_f32 v9, v89, v91, -v54
	v_fmac_f32_e32 v56, v90, v91
	v_fma_f32 v6, v51, v6, -v52
	v_mul_f32_e32 v33, v59, v30
	v_mul_f32_e32 v52, v53, v30
	;; [unrolled: 1-line block ×4, first 2 shown]
	v_fma_f32 v51, v53, v6, -v33
	v_fmac_f32_e32 v52, v59, v6
	v_mul_f32_e32 v6, v3, v11
	v_fmac_f32_e32 v27, v0, v56
	v_fma_f32 v9, v0, v9, -v1
	v_mul_f32_e32 v0, v22, v94
	v_mul_f32_e32 v1, v2, v11
	v_fma_f32 v2, v2, v10, -v6
	v_mul_f32_e32 v6, v63, v27
	v_mul_f32_e32 v11, v21, v94
	v_fma_f32 v21, v21, v93, -v0
	v_fmac_f32_e32 v1, v3, v10
	v_mul_f32_e32 v3, v2, v96
	v_fma_f32 v0, v20, v9, -v6
	v_fmac_f32_e32 v11, v22, v93
	v_mul_f32_e32 v6, v21, v32
	v_mul_f32_e32 v10, v1, v96
	v_fmac_f32_e32 v3, v95, v1
	v_mul_f32_e32 v1, v20, v27
	v_mul_f32_e32 v20, v11, v32
	v_fmac_f32_e32 v6, v31, v11
	v_fma_f32 v11, v95, v2, -v10
	v_mul_f32_e32 v2, v61, v3
	v_mul_f32_e32 v3, v60, v3
	v_fma_f32 v20, v31, v21, -v20
	v_mul_f32_e32 v21, v57, v6
	v_mul_f32_e32 v10, v67, v6
	v_fmac_f32_e32 v1, v63, v9
	v_fma_f32 v2, v60, v11, -v2
	v_fmac_f32_e32 v3, v61, v11
	v_fma_f32 v9, v67, v20, -v21
	v_fmac_f32_e32 v10, v57, v20
	ds_write2_b64 v50, v[23:24], v[7:8] offset1:13
	ds_write2_b64 v50, v[12:13], v[16:17] offset0:26 offset1:39
	ds_write2_b64 v50, v[18:19], v[14:15] offset0:52 offset1:65
	;; [unrolled: 1-line block ×5, first 2 shown]
	ds_write_b64 v50, v[9:10] offset:1248
	s_waitcnt lgkmcnt(0)
	s_barrier
	buffer_gl0_inv
	s_and_saveexec_b32 s8, s20
	s_cbranch_execz .LBB0_16
; %bb.15:
	v_mad_u64_u32 v[4:5], null, s2, v48, 0
	v_mad_u64_u32 v[6:7], null, s0, v46, 0
	s_mul_i32 s2, s7, s24
	s_mul_hi_u32 s7, s6, s24
	s_mul_i32 s6, s6, s24
	s_add_i32 s7, s7, s2
	v_mov_b32_e32 v0, v5
	v_add3_u32 v20, 0, v49, v47
	v_mov_b32_e32 v1, v7
	v_mad_u64_u32 v[8:9], null, s0, v45, 0
	v_mad_u64_u32 v[14:15], null, s0, v42, 0
	;; [unrolled: 1-line block ×3, first 2 shown]
	s_lshl_b64 s[2:3], s[6:7], 3
	s_add_u32 s6, s10, s2
	s_addc_u32 s7, s11, s3
	s_lshl_b64 s[2:3], s[4:5], 3
	v_mad_u64_u32 v[10:11], null, s1, v46, v[1:2]
	v_mov_b32_e32 v5, v2
	ds_read2_b64 v[0:3], v20 offset1:13
	s_add_u32 s2, s6, s2
	s_addc_u32 s3, s7, s3
	v_lshlrev_b64 v[4:5], 3, v[4:5]
	v_mov_b32_e32 v7, v10
	v_mad_u64_u32 v[10:11], null, s0, v44, 0
	v_lshlrev_b64 v[6:7], 3, v[6:7]
	v_add_co_u32 v21, vcc_lo, s2, v4
	v_add_co_ci_u32_e32 v22, vcc_lo, s3, v5, vcc_lo
	v_mad_u64_u32 v[12:13], null, s1, v45, v[9:10]
	v_mov_b32_e32 v4, v11
	v_add_co_u32 v5, vcc_lo, v21, v6
	v_add_co_ci_u32_e32 v6, vcc_lo, v22, v7, vcc_lo
	v_mov_b32_e32 v9, v12
	v_mad_u64_u32 v[11:12], null, s1, v44, v[4:5]
	v_mad_u64_u32 v[12:13], null, s0, v43, 0
	s_waitcnt lgkmcnt(0)
	global_store_dwordx2 v[5:6], v[0:1], off
	v_lshlrev_b64 v[0:1], 3, v[8:9]
	ds_read2_b64 v[4:7], v20 offset0:26 offset1:39
	v_lshlrev_b64 v[9:10], 3, v[10:11]
	v_mov_b32_e32 v8, v13
	v_add_co_u32 v0, vcc_lo, v21, v0
	v_add_co_ci_u32_e32 v1, vcc_lo, v22, v1, vcc_lo
	v_mad_u64_u32 v[16:17], null, s1, v43, v[8:9]
	v_mov_b32_e32 v8, v15
	v_add_co_u32 v9, vcc_lo, v21, v9
	v_add_co_ci_u32_e32 v10, vcc_lo, v22, v10, vcc_lo
	global_store_dwordx2 v[0:1], v[2:3], off
	s_waitcnt lgkmcnt(0)
	global_store_dwordx2 v[9:10], v[4:5], off
	v_mov_b32_e32 v13, v16
	v_mad_u64_u32 v[15:16], null, s1, v42, v[8:9]
	v_mad_u64_u32 v[16:17], null, s0, v41, 0
	;; [unrolled: 1-line block ×3, first 2 shown]
	v_lshlrev_b64 v[4:5], 3, v[12:13]
	ds_read2_b64 v[0:3], v20 offset0:52 offset1:65
	v_lshlrev_b64 v[11:12], 3, v[14:15]
	v_mov_b32_e32 v8, v17
	v_add_co_u32 v4, vcc_lo, v21, v4
	v_add_co_ci_u32_e32 v5, vcc_lo, v22, v5, vcc_lo
	v_mad_u64_u32 v[13:14], null, s1, v41, v[8:9]
	v_mad_u64_u32 v[14:15], null, s0, v39, 0
	v_mov_b32_e32 v8, v10
	global_store_dwordx2 v[4:5], v[6:7], off
	v_add_co_u32 v10, vcc_lo, v21, v11
	v_add_co_ci_u32_e32 v11, vcc_lo, v22, v12, vcc_lo
	v_mov_b32_e32 v4, v15
	v_mov_b32_e32 v17, v13
                                        ; kill: def $vgpr5 killed $sgpr0 killed $exec
	v_mad_u64_u32 v[12:13], null, s1, v40, v[8:9]
	s_waitcnt lgkmcnt(0)
	global_store_dwordx2 v[10:11], v[0:1], off
	v_mad_u64_u32 v[4:5], null, s1, v39, v[4:5]
	v_lshlrev_b64 v[0:1], 3, v[16:17]
	v_mov_b32_e32 v10, v12
	v_mad_u64_u32 v[11:12], null, s0, v38, 0
	v_mov_b32_e32 v15, v4
	ds_read2_b64 v[4:7], v20 offset0:78 offset1:91
	v_add_co_u32 v0, vcc_lo, v21, v0
	v_add_co_ci_u32_e32 v1, vcc_lo, v22, v1, vcc_lo
	v_lshlrev_b64 v[8:9], 3, v[9:10]
	global_store_dwordx2 v[0:1], v[2:3], off
	v_lshlrev_b64 v[0:1], 3, v[14:15]
	v_mov_b32_e32 v2, v12
	v_add_co_u32 v8, vcc_lo, v21, v8
	v_add_co_ci_u32_e32 v9, vcc_lo, v22, v9, vcc_lo
	v_mad_u64_u32 v[2:3], null, s1, v38, v[2:3]
	v_add_co_u32 v0, vcc_lo, v21, v0
	v_add_co_ci_u32_e32 v1, vcc_lo, v22, v1, vcc_lo
	v_mad_u64_u32 v[13:14], null, s0, v37, 0
	s_waitcnt lgkmcnt(0)
	global_store_dwordx2 v[8:9], v[4:5], off
	global_store_dwordx2 v[0:1], v[6:7], off
	v_mov_b32_e32 v12, v2
	ds_read2_b64 v[0:3], v20 offset0:104 offset1:117
	v_mad_u64_u32 v[7:8], null, s0, v35, 0
	v_mad_u64_u32 v[9:10], null, s0, v36, 0
	v_mov_b32_e32 v6, v14
	v_lshlrev_b64 v[4:5], 3, v[11:12]
	v_mad_u64_u32 v[15:16], null, s0, v34, 0
	v_mad_u64_u32 v[11:12], null, s1, v37, v[6:7]
	v_mov_b32_e32 v6, v8
	v_add_co_u32 v4, vcc_lo, v21, v4
	v_add_co_ci_u32_e32 v5, vcc_lo, v22, v5, vcc_lo
	v_mad_u64_u32 v[17:18], null, s1, v35, v[6:7]
	v_mov_b32_e32 v14, v11
	v_mov_b32_e32 v8, v10
	s_waitcnt lgkmcnt(0)
	global_store_dwordx2 v[4:5], v[0:1], off
	v_mov_b32_e32 v0, v16
	v_lshlrev_b64 v[4:5], 3, v[13:14]
	v_mad_u64_u32 v[18:19], null, s1, v36, v[8:9]
	v_mov_b32_e32 v8, v17
	v_mad_u64_u32 v[0:1], null, s1, v34, v[0:1]
	v_add_co_u32 v11, vcc_lo, v21, v4
	v_add_co_ci_u32_e32 v12, vcc_lo, v22, v5, vcc_lo
	v_lshlrev_b64 v[13:14], 3, v[7:8]
	ds_read2_b64 v[4:7], v20 offset0:130 offset1:143
	v_mov_b32_e32 v10, v18
	ds_read_b64 v[17:18], v20 offset:1248
	v_mov_b32_e32 v16, v0
	v_add_co_u32 v0, vcc_lo, v21, v13
	v_lshlrev_b64 v[8:9], 3, v[9:10]
	v_add_co_ci_u32_e32 v1, vcc_lo, v22, v14, vcc_lo
	v_lshlrev_b64 v[13:14], 3, v[15:16]
	v_add_co_u32 v8, vcc_lo, v21, v8
	v_add_co_ci_u32_e32 v9, vcc_lo, v22, v9, vcc_lo
	v_add_co_u32 v13, vcc_lo, v21, v13
	v_add_co_ci_u32_e32 v14, vcc_lo, v22, v14, vcc_lo
	global_store_dwordx2 v[11:12], v[2:3], off
	s_waitcnt lgkmcnt(1)
	global_store_dwordx2 v[0:1], v[4:5], off
	global_store_dwordx2 v[8:9], v[6:7], off
	s_waitcnt lgkmcnt(0)
	global_store_dwordx2 v[13:14], v[17:18], off
.LBB0_16:
	s_endpgm
	.section	.rodata,"a",@progbits
	.p2align	6, 0x0
	.amdhsa_kernel fft_rtc_fwd_len169_factors_13_13_wgs_156_tpt_13_sp_op_CI_CI_sbcc_twdbase8_3step
		.amdhsa_group_segment_fixed_size 0
		.amdhsa_private_segment_fixed_size 0
		.amdhsa_kernarg_size 112
		.amdhsa_user_sgpr_count 6
		.amdhsa_user_sgpr_private_segment_buffer 1
		.amdhsa_user_sgpr_dispatch_ptr 0
		.amdhsa_user_sgpr_queue_ptr 0
		.amdhsa_user_sgpr_kernarg_segment_ptr 1
		.amdhsa_user_sgpr_dispatch_id 0
		.amdhsa_user_sgpr_flat_scratch_init 0
		.amdhsa_user_sgpr_private_segment_size 0
		.amdhsa_wavefront_size32 1
		.amdhsa_uses_dynamic_stack 0
		.amdhsa_system_sgpr_private_segment_wavefront_offset 0
		.amdhsa_system_sgpr_workgroup_id_x 1
		.amdhsa_system_sgpr_workgroup_id_y 0
		.amdhsa_system_sgpr_workgroup_id_z 0
		.amdhsa_system_sgpr_workgroup_info 0
		.amdhsa_system_vgpr_workitem_id 0
		.amdhsa_next_free_vgpr 110
		.amdhsa_next_free_sgpr 59
		.amdhsa_reserve_vcc 1
		.amdhsa_reserve_flat_scratch 0
		.amdhsa_float_round_mode_32 0
		.amdhsa_float_round_mode_16_64 0
		.amdhsa_float_denorm_mode_32 3
		.amdhsa_float_denorm_mode_16_64 3
		.amdhsa_dx10_clamp 1
		.amdhsa_ieee_mode 1
		.amdhsa_fp16_overflow 0
		.amdhsa_workgroup_processor_mode 1
		.amdhsa_memory_ordered 1
		.amdhsa_forward_progress 0
		.amdhsa_shared_vgpr_count 0
		.amdhsa_exception_fp_ieee_invalid_op 0
		.amdhsa_exception_fp_denorm_src 0
		.amdhsa_exception_fp_ieee_div_zero 0
		.amdhsa_exception_fp_ieee_overflow 0
		.amdhsa_exception_fp_ieee_underflow 0
		.amdhsa_exception_fp_ieee_inexact 0
		.amdhsa_exception_int_div_zero 0
	.end_amdhsa_kernel
	.text
.Lfunc_end0:
	.size	fft_rtc_fwd_len169_factors_13_13_wgs_156_tpt_13_sp_op_CI_CI_sbcc_twdbase8_3step, .Lfunc_end0-fft_rtc_fwd_len169_factors_13_13_wgs_156_tpt_13_sp_op_CI_CI_sbcc_twdbase8_3step
                                        ; -- End function
	.section	.AMDGPU.csdata,"",@progbits
; Kernel info:
; codeLenInByte = 12092
; NumSgprs: 61
; NumVgprs: 110
; ScratchSize: 0
; MemoryBound: 0
; FloatMode: 240
; IeeeMode: 1
; LDSByteSize: 0 bytes/workgroup (compile time only)
; SGPRBlocks: 7
; VGPRBlocks: 13
; NumSGPRsForWavesPerEU: 61
; NumVGPRsForWavesPerEU: 110
; Occupancy: 9
; WaveLimiterHint : 1
; COMPUTE_PGM_RSRC2:SCRATCH_EN: 0
; COMPUTE_PGM_RSRC2:USER_SGPR: 6
; COMPUTE_PGM_RSRC2:TRAP_HANDLER: 0
; COMPUTE_PGM_RSRC2:TGID_X_EN: 1
; COMPUTE_PGM_RSRC2:TGID_Y_EN: 0
; COMPUTE_PGM_RSRC2:TGID_Z_EN: 0
; COMPUTE_PGM_RSRC2:TIDIG_COMP_CNT: 0
	.text
	.p2alignl 6, 3214868480
	.fill 48, 4, 3214868480
	.type	__hip_cuid_7c2bb7920a6b7ab,@object ; @__hip_cuid_7c2bb7920a6b7ab
	.section	.bss,"aw",@nobits
	.globl	__hip_cuid_7c2bb7920a6b7ab
__hip_cuid_7c2bb7920a6b7ab:
	.byte	0                               ; 0x0
	.size	__hip_cuid_7c2bb7920a6b7ab, 1

	.ident	"AMD clang version 19.0.0git (https://github.com/RadeonOpenCompute/llvm-project roc-6.4.0 25133 c7fe45cf4b819c5991fe208aaa96edf142730f1d)"
	.section	".note.GNU-stack","",@progbits
	.addrsig
	.addrsig_sym __hip_cuid_7c2bb7920a6b7ab
	.amdgpu_metadata
---
amdhsa.kernels:
  - .args:
      - .actual_access:  read_only
        .address_space:  global
        .offset:         0
        .size:           8
        .value_kind:     global_buffer
      - .address_space:  global
        .offset:         8
        .size:           8
        .value_kind:     global_buffer
      - .offset:         16
        .size:           8
        .value_kind:     by_value
      - .actual_access:  read_only
        .address_space:  global
        .offset:         24
        .size:           8
        .value_kind:     global_buffer
      - .actual_access:  read_only
        .address_space:  global
        .offset:         32
        .size:           8
        .value_kind:     global_buffer
      - .actual_access:  read_only
        .address_space:  global
        .offset:         40
        .size:           8
        .value_kind:     global_buffer
      - .offset:         48
        .size:           8
        .value_kind:     by_value
      - .actual_access:  read_only
        .address_space:  global
        .offset:         56
        .size:           8
        .value_kind:     global_buffer
      - .actual_access:  read_only
        .address_space:  global
        .offset:         64
        .size:           8
        .value_kind:     global_buffer
      - .offset:         72
        .size:           4
        .value_kind:     by_value
      - .actual_access:  read_only
        .address_space:  global
        .offset:         80
        .size:           8
        .value_kind:     global_buffer
      - .actual_access:  read_only
        .address_space:  global
        .offset:         88
        .size:           8
        .value_kind:     global_buffer
      - .actual_access:  read_only
        .address_space:  global
        .offset:         96
        .size:           8
        .value_kind:     global_buffer
      - .actual_access:  write_only
        .address_space:  global
        .offset:         104
        .size:           8
        .value_kind:     global_buffer
    .group_segment_fixed_size: 0
    .kernarg_segment_align: 8
    .kernarg_segment_size: 112
    .language:       OpenCL C
    .language_version:
      - 2
      - 0
    .max_flat_workgroup_size: 156
    .name:           fft_rtc_fwd_len169_factors_13_13_wgs_156_tpt_13_sp_op_CI_CI_sbcc_twdbase8_3step
    .private_segment_fixed_size: 0
    .sgpr_count:     61
    .sgpr_spill_count: 0
    .symbol:         fft_rtc_fwd_len169_factors_13_13_wgs_156_tpt_13_sp_op_CI_CI_sbcc_twdbase8_3step.kd
    .uniform_work_group_size: 1
    .uses_dynamic_stack: false
    .vgpr_count:     110
    .vgpr_spill_count: 0
    .wavefront_size: 32
    .workgroup_processor_mode: 1
amdhsa.target:   amdgcn-amd-amdhsa--gfx1030
amdhsa.version:
  - 1
  - 2
...

	.end_amdgpu_metadata
